;; amdgpu-corpus repo=ROCm/rocFFT kind=compiled arch=gfx1100 opt=O3
	.text
	.amdgcn_target "amdgcn-amd-amdhsa--gfx1100"
	.amdhsa_code_object_version 6
	.protected	bluestein_single_fwd_len720_dim1_half_op_CI_CI ; -- Begin function bluestein_single_fwd_len720_dim1_half_op_CI_CI
	.globl	bluestein_single_fwd_len720_dim1_half_op_CI_CI
	.p2align	8
	.type	bluestein_single_fwd_len720_dim1_half_op_CI_CI,@function
bluestein_single_fwd_len720_dim1_half_op_CI_CI: ; @bluestein_single_fwd_len720_dim1_half_op_CI_CI
; %bb.0:
	s_load_b128 s[4:7], s[0:1], 0x28
	v_mul_u32_u24_e32 v1, 0x223, v0
	v_mov_b32_e32 v8, 0
	s_mov_b32 s2, exec_lo
	s_delay_alu instid0(VALU_DEP_2) | instskip(NEXT) | instid1(VALU_DEP_1)
	v_lshrrev_b32_e32 v1, 16, v1
	v_lshl_add_u32 v7, s15, 1, v1
	s_waitcnt lgkmcnt(0)
	s_delay_alu instid0(VALU_DEP_1)
	v_cmpx_gt_u64_e64 s[4:5], v[7:8]
	s_cbranch_execz .LBB0_23
; %bb.1:
	v_mul_lo_u16 v2, 0x78, v1
	s_clause 0x1
	s_load_b64 s[10:11], s[0:1], 0x0
	s_load_b64 s[8:9], s[0:1], 0x38
	v_and_b32_e32 v1, 1, v1
	v_sub_nc_u16 v0, v0, v2
	s_delay_alu instid0(VALU_DEP_2) | instskip(NEXT) | instid1(VALU_DEP_2)
	v_cmp_eq_u32_e32 vcc_lo, 1, v1
	v_and_b32_e32 v28, 0xffff, v0
	v_cndmask_b32_e64 v30, 0, 0x2d0, vcc_lo
	v_cmp_gt_u16_e32 vcc_lo, 0x48, v0
	s_delay_alu instid0(VALU_DEP_3) | instskip(NEXT) | instid1(VALU_DEP_3)
	v_lshlrev_b32_e32 v29, 2, v28
	v_lshlrev_b32_e32 v31, 2, v30
	s_and_saveexec_b32 s3, vcc_lo
	s_cbranch_execz .LBB0_3
; %bb.2:
	s_load_b64 s[4:5], s[0:1], 0x18
	s_waitcnt lgkmcnt(0)
	s_load_b128 s[12:15], s[4:5], 0x0
	s_waitcnt lgkmcnt(0)
	v_mad_u64_u32 v[0:1], null, s14, v7, 0
	v_mad_u64_u32 v[2:3], null, s12, v28, 0
	s_mul_i32 s4, s13, 0x120
	s_mul_hi_u32 s5, s12, 0x120
	s_delay_alu instid0(SALU_CYCLE_1) | instskip(NEXT) | instid1(VALU_DEP_1)
	s_add_i32 s5, s5, s4
	v_mad_u64_u32 v[4:5], null, s15, v7, v[1:2]
	s_delay_alu instid0(VALU_DEP_1) | instskip(SKIP_1) | instid1(VALU_DEP_1)
	v_mad_u64_u32 v[5:6], null, s13, v28, v[3:4]
	v_mov_b32_e32 v1, v4
	v_lshlrev_b64 v[0:1], 2, v[0:1]
	s_delay_alu instid0(VALU_DEP_3) | instskip(NEXT) | instid1(VALU_DEP_2)
	v_mov_b32_e32 v3, v5
	v_add_co_u32 v0, s2, s6, v0
	s_delay_alu instid0(VALU_DEP_2) | instskip(NEXT) | instid1(VALU_DEP_4)
	v_lshlrev_b64 v[2:3], 2, v[2:3]
	v_add_co_ci_u32_e64 v1, s2, s7, v1, s2
	s_mul_i32 s6, s12, 0x120
	s_delay_alu instid0(VALU_DEP_2) | instskip(NEXT) | instid1(VALU_DEP_1)
	v_add_co_u32 v0, s2, v0, v2
	v_add_co_ci_u32_e64 v1, s2, v1, v3, s2
	s_delay_alu instid0(VALU_DEP_2) | instskip(NEXT) | instid1(VALU_DEP_1)
	v_add_co_u32 v2, s2, v0, s6
	v_add_co_ci_u32_e64 v3, s2, s5, v1, s2
	s_clause 0x7
	global_load_b32 v4, v29, s[10:11]
	global_load_b32 v5, v29, s[10:11] offset:288
	global_load_b32 v6, v29, s[10:11] offset:576
	;; [unrolled: 1-line block ×7, first 2 shown]
	global_load_b32 v13, v[0:1], off
	global_load_b32 v14, v29, s[10:11] offset:2304
	global_load_b32 v15, v[2:3], off
	v_add_co_u32 v0, s2, v2, s6
	s_delay_alu instid0(VALU_DEP_1) | instskip(SKIP_2) | instid1(VALU_DEP_1)
	v_add_co_ci_u32_e64 v1, s2, s5, v3, s2
	global_load_b32 v16, v29, s[10:11] offset:2592
	v_add_co_u32 v2, s2, v0, s6
	v_add_co_ci_u32_e64 v3, s2, s5, v1, s2
	global_load_b32 v17, v[0:1], off
	v_add_co_u32 v0, s2, v2, s6
	s_delay_alu instid0(VALU_DEP_1) | instskip(SKIP_4) | instid1(VALU_DEP_1)
	v_add_co_ci_u32_e64 v1, s2, s5, v3, s2
	s_clause 0x1
	global_load_b32 v18, v[2:3], off
	global_load_b32 v19, v[0:1], off
	v_add_co_u32 v0, s2, v0, s6
	v_add_co_ci_u32_e64 v1, s2, s5, v1, s2
	s_delay_alu instid0(VALU_DEP_2) | instskip(NEXT) | instid1(VALU_DEP_1)
	v_add_co_u32 v2, s2, v0, s6
	v_add_co_ci_u32_e64 v3, s2, s5, v1, s2
	global_load_b32 v20, v[0:1], off
	v_add_co_u32 v0, s2, v2, s6
	s_delay_alu instid0(VALU_DEP_1) | instskip(SKIP_2) | instid1(VALU_DEP_1)
	v_add_co_ci_u32_e64 v1, s2, s5, v3, s2
	global_load_b32 v21, v[2:3], off
	v_add_co_u32 v2, s2, v0, s6
	v_add_co_ci_u32_e64 v3, s2, s5, v1, s2
	global_load_b32 v22, v[0:1], off
	v_add_co_u32 v0, s2, v2, s6
	s_delay_alu instid0(VALU_DEP_1) | instskip(SKIP_4) | instid1(VALU_DEP_1)
	v_add_co_ci_u32_e64 v1, s2, s5, v3, s2
	global_load_b32 v2, v[2:3], off
	global_load_b32 v0, v[0:1], off
	v_lshl_add_u32 v3, v28, 2, v31
	v_add_nc_u32_e32 v1, v31, v29
	v_add_nc_u32_e32 v23, 0x200, v1
	s_waitcnt vmcnt(19)
	v_lshrrev_b32_e32 v24, 16, v4
	s_waitcnt vmcnt(18)
	v_lshrrev_b32_e32 v25, 16, v5
	;; [unrolled: 2-line block ×9, first 2 shown]
	v_mul_f16_e32 v37, v24, v13
	s_waitcnt vmcnt(9)
	v_lshrrev_b32_e32 v39, 16, v15
	v_lshrrev_b32_e32 v38, 16, v14
	v_mul_f16_e32 v24, v24, v34
	v_fma_f16 v34, v4, v34, -v37
	v_mul_f16_e32 v37, v25, v15
	s_waitcnt vmcnt(8)
	v_lshrrev_b32_e32 v40, 16, v16
	v_fmac_f16_e32 v24, v4, v13
	v_mul_f16_e32 v4, v25, v39
	s_waitcnt vmcnt(7)
	v_lshrrev_b32_e32 v13, 16, v17
	v_mul_f16_e32 v25, v26, v17
	v_fma_f16 v37, v5, v39, -v37
	v_pack_b32_f16 v24, v24, v34
	v_fmac_f16_e32 v4, v5, v15
	v_mul_f16_e32 v5, v26, v13
	s_waitcnt vmcnt(6)
	v_lshrrev_b32_e32 v15, 16, v18
	v_fma_f16 v13, v6, v13, -v25
	v_mul_f16_e32 v25, v27, v18
	ds_store_b32 v3, v24
	v_pack_b32_f16 v3, v4, v37
	v_fmac_f16_e32 v5, v6, v17
	v_mul_f16_e32 v4, v27, v15
	s_waitcnt vmcnt(5)
	v_lshrrev_b32_e32 v6, 16, v19
	v_fma_f16 v15, v8, v15, -v25
	v_mul_f16_e32 v17, v32, v19
	v_pack_b32_f16 v5, v5, v13
	v_fmac_f16_e32 v4, v8, v18
	v_mul_f16_e32 v8, v32, v6
	s_waitcnt vmcnt(4)
	v_lshrrev_b32_e32 v13, 16, v20
	v_fma_f16 v6, v9, v6, -v17
	v_mul_f16_e32 v17, v33, v20
	;; [unrolled: 7-line block ×4, first 2 shown]
	v_pack_b32_f16 v9, v9, v13
	v_fmac_f16_e32 v8, v11, v21
	s_waitcnt vmcnt(1)
	v_lshrrev_b32_e32 v13, 16, v2
	s_waitcnt vmcnt(0)
	v_lshrrev_b32_e32 v18, 16, v0
	v_mul_f16_e32 v11, v36, v10
	v_fma_f16 v10, v12, v10, -v17
	v_mul_f16_e32 v17, v38, v2
	v_pack_b32_f16 v8, v8, v15
	v_mul_f16_e32 v15, v38, v13
	v_mul_f16_e32 v19, v40, v18
	;; [unrolled: 1-line block ×3, first 2 shown]
	v_fmac_f16_e32 v11, v12, v22
	v_fma_f16 v12, v14, v13, -v17
	v_fmac_f16_e32 v15, v14, v2
	v_add_nc_u32_e32 v2, 0x400, v1
	v_fmac_f16_e32 v19, v16, v0
	v_fma_f16 v0, v16, v18, -v20
	v_pack_b32_f16 v10, v11, v10
	v_pack_b32_f16 v11, v15, v12
	v_add_nc_u32_e32 v12, 0x600, v1
	s_delay_alu instid0(VALU_DEP_4)
	v_pack_b32_f16 v0, v19, v0
	ds_store_2addr_b32 v1, v3, v5 offset0:72 offset1:144
	ds_store_2addr_b32 v23, v4, v6 offset0:88 offset1:160
	;; [unrolled: 1-line block ×4, first 2 shown]
	ds_store_b32 v1, v0 offset:2592
.LBB0_3:
	s_or_b32 exec_lo, exec_lo, s3
	s_clause 0x1
	s_load_b64 s[4:5], s[0:1], 0x20
	s_load_b64 s[2:3], s[0:1], 0x8
                                        ; kill: def $vgpr0 killed $sgpr0 killed $exec
	s_waitcnt lgkmcnt(0)
	s_barrier
	buffer_gl0_inv
                                        ; implicit-def: $vgpr1
                                        ; implicit-def: $vgpr3
                                        ; implicit-def: $vgpr5
                                        ; implicit-def: $vgpr11
                                        ; implicit-def: $vgpr9
	s_and_saveexec_b32 s0, vcc_lo
	s_cbranch_execz .LBB0_5
; %bb.4:
	v_lshl_add_u32 v0, v30, 2, v29
	s_delay_alu instid0(VALU_DEP_1)
	v_add_nc_u32_e32 v1, 0x400, v0
	v_add_nc_u32_e32 v6, 0x800, v0
	ds_load_2addr_b32 v[8:9], v0 offset1:72
	ds_load_2addr_b32 v[10:11], v0 offset0:144 offset1:216
	ds_load_2addr_b32 v[4:5], v1 offset0:32 offset1:104
	;; [unrolled: 1-line block ×4, first 2 shown]
.LBB0_5:
	s_or_b32 exec_lo, exec_lo, s0
	s_waitcnt lgkmcnt(1)
	v_add_f16_e32 v6, v2, v4
	s_waitcnt lgkmcnt(0)
	v_lshrrev_b32_e32 v12, 16, v0
	v_lshrrev_b32_e32 v13, 16, v10
	;; [unrolled: 1-line block ×4, first 2 shown]
	v_fma_f16 v6, -0.5, v6, v8
	v_sub_f16_e32 v15, v10, v4
	v_sub_f16_e32 v19, v13, v12
	;; [unrolled: 1-line block ×3, first 2 shown]
	v_add_f16_e32 v20, v0, v10
	v_sub_f16_e32 v21, v17, v16
	v_add_f16_e32 v23, v16, v17
	v_fmamk_f16 v14, v19, 0x3b9c, v6
	v_fmac_f16_e32 v6, 0xbb9c, v19
	v_add_f16_e32 v22, v18, v15
	v_fma_f16 v15, -0.5, v20, v8
	v_lshrrev_b32_e32 v20, 16, v8
	v_fmac_f16_e32 v14, 0x38b4, v21
	v_fmac_f16_e32 v6, 0xb8b4, v21
	v_sub_f16_e32 v24, v4, v10
	v_sub_f16_e32 v25, v2, v0
	v_fmamk_f16 v18, v21, 0xbb9c, v15
	v_fmac_f16_e32 v14, 0x34f2, v22
	v_fmac_f16_e32 v15, 0x3b9c, v21
	v_fma_f16 v21, -0.5, v23, v20
	v_sub_f16_e32 v23, v10, v0
	v_fmac_f16_e32 v6, 0x34f2, v22
	v_add_f16_e32 v22, v25, v24
	v_add_f16_e32 v24, v12, v13
	v_fmac_f16_e32 v18, 0x38b4, v19
	v_fmac_f16_e32 v15, 0xb8b4, v19
	v_fmamk_f16 v19, v23, 0xbb9c, v21
	v_sub_f16_e32 v25, v4, v2
	v_sub_f16_e32 v26, v13, v17
	v_sub_f16_e32 v27, v12, v16
	v_fmac_f16_e32 v20, -0.5, v24
	v_fmac_f16_e32 v21, 0x3b9c, v23
	v_fmac_f16_e32 v18, 0x34f2, v22
	;; [unrolled: 1-line block ×4, first 2 shown]
	v_add_f16_e32 v24, v27, v26
	v_fmamk_f16 v22, v25, 0x3b9c, v20
	v_fmac_f16_e32 v21, 0x38b4, v25
	v_fmac_f16_e32 v20, 0xbb9c, v25
	v_add_f16_e32 v26, v3, v5
	v_lshrrev_b32_e32 v27, 16, v1
	v_lshrrev_b32_e32 v32, 16, v11
	v_fmac_f16_e32 v19, 0x34f2, v24
	v_fmac_f16_e32 v22, 0xb8b4, v23
	v_lshrrev_b32_e32 v33, 16, v3
	v_lshrrev_b32_e32 v34, 16, v5
	v_sub_f16_e32 v13, v17, v13
	v_sub_f16_e32 v12, v16, v12
	v_sub_f16_e32 v25, v11, v5
	v_sub_f16_e32 v36, v1, v3
	v_add_f16_e32 v37, v1, v11
	v_fmac_f16_e32 v20, 0x38b4, v23
	v_fmac_f16_e32 v21, 0x34f2, v24
	v_sub_f16_e32 v23, v5, v11
	v_sub_f16_e32 v24, v3, v1
	v_fma_f16 v35, -0.5, v26, v9
	v_sub_f16_e32 v26, v32, v27
	v_add_f16_e32 v12, v12, v13
	v_add_f16_e32 v13, v36, v25
	v_fma_f16 v25, -0.5, v37, v9
	v_add_f16_e32 v36, v33, v34
	v_lshrrev_b32_e32 v37, 16, v9
	v_add_f16_e32 v23, v24, v23
	v_add_f16_e32 v24, v27, v32
	v_fmamk_f16 v16, v26, 0x3b9c, v35
	v_sub_f16_e32 v17, v34, v33
	v_fmac_f16_e32 v35, 0xbb9c, v26
	v_fma_f16 v36, -0.5, v36, v37
	v_sub_f16_e32 v38, v11, v1
	v_sub_f16_e32 v39, v5, v3
	v_fmac_f16_e32 v37, -0.5, v24
	v_fmac_f16_e32 v16, 0x38b4, v17
	v_fmac_f16_e32 v22, 0x34f2, v12
	;; [unrolled: 1-line block ×3, first 2 shown]
	v_fmamk_f16 v12, v17, 0xbb9c, v25
	v_fmac_f16_e32 v35, 0xb8b4, v17
	v_fmac_f16_e32 v25, 0x3b9c, v17
	v_fmamk_f16 v17, v38, 0xbb9c, v36
	v_sub_f16_e32 v24, v32, v34
	v_sub_f16_e32 v40, v27, v33
	v_fmamk_f16 v41, v39, 0x3b9c, v37
	v_sub_f16_e32 v32, v34, v32
	v_sub_f16_e32 v27, v33, v27
	v_fmac_f16_e32 v17, 0xb8b4, v39
	v_add_f16_e32 v24, v40, v24
	v_fmac_f16_e32 v37, 0xbb9c, v39
	v_fmac_f16_e32 v41, 0xb8b4, v38
	v_add_f16_e32 v27, v27, v32
	v_fmac_f16_e32 v36, 0x3b9c, v38
	v_fmac_f16_e32 v12, 0x38b4, v26
	;; [unrolled: 1-line block ×11, first 2 shown]
	v_mul_f16_e32 v23, 0x38b4, v17
	v_mul_f16_e32 v26, 0x3b9c, v41
	v_fmac_f16_e32 v35, 0x34f2, v13
	v_fmac_f16_e32 v36, 0x34f2, v24
	v_mul_f16_e32 v27, 0x34f2, v25
	v_fmac_f16_e32 v23, 0x3a79, v16
	v_fmac_f16_e32 v26, 0x34f2, v12
	v_mul_f16_e32 v13, 0x3a79, v35
	v_mul_f16_e32 v32, 0xb8b4, v16
	;; [unrolled: 1-line block ×5, first 2 shown]
	v_fma_f16 v27, v37, 0x3b9c, -v27
	v_fma_f16 v34, v36, 0x38b4, -v13
	v_fmac_f16_e32 v32, 0x3a79, v17
	v_fmac_f16_e32 v33, 0x34f2, v41
	v_fma_f16 v36, v25, 0xbb9c, -v12
	v_fma_f16 v37, v35, 0xb8b4, -v16
	v_sub_f16_e32 v16, v14, v23
	v_sub_f16_e32 v17, v18, v26
	;; [unrolled: 1-line block ×8, first 2 shown]
	v_mul_lo_u16 v35, v28, 10
	s_barrier
	buffer_gl0_inv
	s_and_saveexec_b32 s0, vcc_lo
	s_cbranch_execz .LBB0_7
; %bb.6:
	v_pk_add_f16 v8, v10, v8
	v_pk_add_f16 v9, v11, v9
	v_add_f16_e32 v11, v20, v36
	v_add_f16_e32 v10, v21, v37
	;; [unrolled: 1-line block ×3, first 2 shown]
	v_pk_add_f16 v4, v4, v8
	v_pk_add_f16 v5, v5, v9
	v_add_f16_e32 v8, v22, v33
	v_add_f16_e32 v9, v19, v32
	s_delay_alu instid0(VALU_DEP_4) | instskip(NEXT) | instid1(VALU_DEP_4)
	v_pk_add_f16 v2, v2, v4
	v_pk_add_f16 v3, v3, v5
	v_add_f16_e32 v4, v15, v27
	v_and_b32_e32 v5, 0xffff, v35
	v_add_f16_e32 v15, v18, v26
	v_pk_add_f16 v18, v0, v2
	v_pk_add_f16 v19, v1, v3
	v_add_f16_e32 v3, v14, v23
	v_add_lshl_u32 v14, v30, v5, 2
	v_pack_b32_f16 v1, v4, v11
	v_pack_b32_f16 v0, v15, v8
	v_pk_add_f16 v2, v19, v18
	v_pack_b32_f16 v3, v3, v9
	v_pk_add_f16 v5, v18, v19 neg_lo:[0,1] neg_hi:[0,1]
	v_perm_b32 v9, v25, v17, 0x5040100
	v_perm_b32 v8, v24, v16, 0x5040100
	v_pack_b32_f16 v4, v6, v10
	v_perm_b32 v11, v38, v13, 0x5040100
	v_perm_b32 v10, v40, v12, 0x5040100
	ds_store_2addr_b64 v14, v[2:3], v[0:1] offset1:1
	ds_store_2addr_b64 v14, v[4:5], v[8:9] offset0:2 offset1:3
	ds_store_b64 v14, v[10:11] offset:32
.LBB0_7:
	s_or_b32 exec_lo, exec_lo, s0
	v_and_b32_e32 v0, 0xff, v28
	v_add_co_u32 v14, s0, 0x78, v28
	s_load_b128 s[4:7], s[4:5], 0x0
	s_waitcnt lgkmcnt(0)
	s_delay_alu instid0(VALU_DEP_2) | instskip(NEXT) | instid1(VALU_DEP_2)
	v_mul_lo_u16 v1, 0xcd, v0
	v_and_b32_e32 v2, 0xff, v14
	s_barrier
	buffer_gl0_inv
	v_add_lshl_u32 v33, v30, v28, 2
	v_lshrrev_b16 v6, 11, v1
	v_mul_lo_u16 v1, 0xcd, v2
	v_add_co_ci_u32_e64 v15, null, 0, 0, s0
	s_delay_alu instid0(VALU_DEP_4) | instskip(NEXT) | instid1(VALU_DEP_4)
	v_add_nc_u32_e32 v4, 0x600, v33
	v_mul_lo_u16 v2, v6, 10
	s_delay_alu instid0(VALU_DEP_4)
	v_lshrrev_b16 v20, 11, v1
	ds_load_2addr_b32 v[18:19], v33 offset1:120
	v_and_b32_e32 v6, 0xffff, v6
	v_cmp_gt_u16_e64 s0, 0x5a, v28
	v_sub_nc_u16 v1, v28, v2
	v_mul_lo_u16 v2, v20, 10
	v_and_b32_e32 v20, 0xffff, v20
	v_mul_u32_u24_e32 v6, 30, v6
	s_delay_alu instid0(VALU_DEP_4) | instskip(NEXT) | instid1(VALU_DEP_4)
	v_and_b32_e32 v21, 0xff, v1
	v_sub_nc_u16 v1, v14, v2
	s_delay_alu instid0(VALU_DEP_4) | instskip(NEXT) | instid1(VALU_DEP_3)
	v_mul_u32_u24_e32 v20, 30, v20
	v_lshlrev_b32_e32 v2, 3, v21
	s_delay_alu instid0(VALU_DEP_3)
	v_and_b32_e32 v22, 0xff, v1
	v_add_nc_u32_e32 v6, v6, v21
	global_load_b64 v[8:9], v2, s[2:3]
	v_lshlrev_b32_e32 v1, 3, v22
	v_add_lshl_u32 v36, v30, v6, 2
	v_add_nc_u32_e32 v6, v20, v22
	s_waitcnt lgkmcnt(0)
	v_lshrrev_b32_e32 v27, 16, v18
	v_lshrrev_b32_e32 v26, 16, v19
	global_load_b64 v[10:11], v1, s[2:3]
	v_add_nc_u32_e32 v1, 0x200, v33
	v_add_lshl_u32 v37, v30, v6, 2
	ds_load_2addr_b32 v[2:3], v1 offset0:112 offset1:232
	ds_load_2addr_b32 v[4:5], v4 offset0:96 offset1:216
	s_waitcnt vmcnt(0) lgkmcnt(0)
	s_barrier
	buffer_gl0_inv
	v_lshrrev_b32_e32 v21, 16, v2
	v_lshrrev_b32_e32 v23, 16, v4
	;; [unrolled: 1-line block ×6, first 2 shown]
	s_delay_alu instid0(VALU_DEP_2) | instskip(SKIP_1) | instid1(VALU_DEP_3)
	v_mul_f16_e32 v6, v21, v48
	v_mul_f16_e32 v20, v2, v48
	;; [unrolled: 1-line block ×3, first 2 shown]
	v_lshrrev_b32_e32 v51, 16, v10
	v_lshrrev_b32_e32 v50, 16, v11
	v_mul_f16_e32 v39, v4, v49
	v_fma_f16 v2, v2, v8, -v6
	v_fmac_f16_e32 v20, v21, v8
	v_fma_f16 v4, v4, v9, -v22
	v_mul_f16_e32 v6, v32, v51
	v_mul_f16_e32 v21, v3, v51
	;; [unrolled: 1-line block ×4, first 2 shown]
	v_fmac_f16_e32 v39, v23, v9
	v_fma_f16 v3, v3, v10, -v6
	v_fmac_f16_e32 v21, v32, v10
	v_fma_f16 v5, v5, v11, -v22
	v_fmac_f16_e32 v41, v34, v11
	v_add_f16_e32 v6, v18, v2
	v_add_f16_e32 v32, v27, v20
	;; [unrolled: 1-line block ×4, first 2 shown]
	v_sub_f16_e32 v23, v20, v39
	v_add_f16_e32 v20, v6, v4
	v_add_f16_e32 v32, v32, v39
	;; [unrolled: 1-line block ×4, first 2 shown]
	v_sub_f16_e32 v2, v2, v4
	v_fma_f16 v22, -0.5, v22, v18
	v_fmac_f16_e32 v27, -0.5, v34
	v_add_f16_e32 v4, v19, v3
	v_sub_f16_e32 v34, v21, v41
	v_add_f16_e32 v18, v26, v21
	v_sub_f16_e32 v3, v3, v5
	v_fmac_f16_e32 v19, -0.5, v6
	v_fmac_f16_e32 v26, -0.5, v39
	v_fmamk_f16 v21, v23, 0x3aee, v22
	v_fmamk_f16 v43, v2, 0xbaee, v27
	v_fmac_f16_e32 v22, 0xbaee, v23
	v_fmac_f16_e32 v27, 0x3aee, v2
	v_add_f16_e32 v23, v4, v5
	v_add_f16_e32 v52, v18, v41
	v_fmamk_f16 v18, v34, 0x3aee, v19
	v_fmamk_f16 v53, v3, 0xbaee, v26
	v_fmac_f16_e32 v19, 0xbaee, v34
	v_fmac_f16_e32 v26, 0x3aee, v3
	v_pack_b32_f16 v2, v20, v32
	v_pack_b32_f16 v3, v21, v43
	;; [unrolled: 1-line block ×6, first 2 shown]
	ds_store_2addr_b32 v36, v2, v3 offset1:10
	ds_store_b32 v36, v4 offset:80
	ds_store_2addr_b32 v37, v5, v6 offset1:10
	ds_store_b32 v37, v34 offset:80
	s_waitcnt lgkmcnt(0)
	s_barrier
	buffer_gl0_inv
	s_and_saveexec_b32 s1, s0
	s_cbranch_execz .LBB0_9
; %bb.8:
	v_add_nc_u32_e32 v2, 0x400, v33
	v_add_nc_u32_e32 v3, 0x800, v33
	ds_load_2addr_b32 v[20:21], v33 offset1:90
	ds_load_2addr_b32 v[22:23], v1 offset0:52 offset1:142
	ds_load_2addr_b32 v[18:19], v2 offset0:104 offset1:194
	;; [unrolled: 1-line block ×3, first 2 shown]
	s_waitcnt lgkmcnt(3)
	v_lshrrev_b32_e32 v32, 16, v20
	v_lshrrev_b32_e32 v43, 16, v21
	s_waitcnt lgkmcnt(2)
	v_lshrrev_b32_e32 v27, 16, v22
	v_lshrrev_b32_e32 v52, 16, v23
	;; [unrolled: 3-line block ×4, first 2 shown]
.LBB0_9:
	s_or_b32 exec_lo, exec_lo, s1
	v_mul_lo_u16 v0, 0x89, v0
	s_delay_alu instid0(VALU_DEP_1) | instskip(NEXT) | instid1(VALU_DEP_1)
	v_lshrrev_b16 v59, 12, v0
	v_mul_lo_u16 v0, v59, 30
	s_delay_alu instid0(VALU_DEP_1) | instskip(NEXT) | instid1(VALU_DEP_1)
	v_sub_nc_u16 v0, v28, v0
	v_and_b32_e32 v34, 0xff, v0
	s_delay_alu instid0(VALU_DEP_1)
	v_mad_u64_u32 v[4:5], null, v34, 28, s[2:3]
	s_clause 0x1
	global_load_b128 v[0:3], v[4:5], off offset:80
	global_load_b96 v[4:6], v[4:5], off offset:96
	s_waitcnt vmcnt(0)
	s_barrier
	buffer_gl0_inv
	v_lshrrev_b32_e32 v44, 16, v0
	v_lshrrev_b32_e32 v41, 16, v1
	;; [unrolled: 1-line block ×7, first 2 shown]
	v_mul_f16_e32 v54, v43, v44
	v_mul_f16_e32 v55, v21, v44
	;; [unrolled: 1-line block ×14, first 2 shown]
	v_fma_f16 v21, v21, v0, -v54
	v_fmac_f16_e32 v55, v43, v0
	v_fma_f16 v43, v22, v1, -v56
	v_fmac_f16_e32 v57, v27, v1
	;; [unrolled: 2-line block ×7, first 2 shown]
	v_sub_f16_e32 v24, v20, v18
	v_sub_f16_e32 v17, v32, v62
	;; [unrolled: 1-line block ×8, first 2 shown]
	v_fma_f16 v22, v20, 2.0, -v24
	v_fma_f16 v20, v32, 2.0, -v17
	v_fma_f16 v32, v43, 2.0, -v16
	v_fma_f16 v43, v57, 2.0, -v18
	v_fma_f16 v25, v21, 2.0, -v27
	v_fma_f16 v23, v55, 2.0, -v26
	v_fma_f16 v53, v54, 2.0, -v19
	v_fma_f16 v57, v60, 2.0, -v52
	v_sub_f16_e32 v54, v24, v18
	v_add_f16_e32 v16, v17, v16
	v_sub_f16_e32 v56, v27, v52
	v_add_f16_e32 v55, v26, v19
	v_sub_f16_e32 v52, v22, v32
	v_sub_f16_e32 v21, v20, v43
	;; [unrolled: 1-line block ×4, first 2 shown]
	v_fmamk_f16 v19, v56, 0x39a8, v54
	v_fmamk_f16 v57, v55, 0x39a8, v16
	v_and_b32_e32 v43, 0xffff, v59
	v_sub_f16_e32 v18, v52, v32
	v_add_f16_e32 v58, v21, v53
	v_fmac_f16_e32 v19, 0xb9a8, v55
	v_fmac_f16_e32 v57, 0x39a8, v56
	s_and_saveexec_b32 s1, s0
	s_cbranch_execz .LBB0_11
; %bb.10:
	v_fma_f16 v24, v24, 2.0, -v54
	v_fma_f16 v27, v27, 2.0, -v56
	;; [unrolled: 1-line block ×6, first 2 shown]
	v_fmamk_f16 v55, v27, 0xb9a8, v24
	v_fma_f16 v20, v20, 2.0, -v21
	v_fma_f16 v23, v23, 2.0, -v32
	v_fmamk_f16 v32, v26, 0xb9a8, v17
	v_sub_f16_e32 v25, v22, v25
	v_fmac_f16_e32 v55, 0xb9a8, v26
	v_mul_u32_u24_e32 v26, 0xf0, v43
	v_sub_f16_e32 v23, v20, v23
	v_fmac_f16_e32 v32, 0x39a8, v27
	v_fma_f16 v22, v22, 2.0, -v25
	v_fma_f16 v24, v24, 2.0, -v55
	v_add_nc_u32_e32 v26, v26, v34
	v_fma_f16 v20, v20, 2.0, -v23
	v_fma_f16 v17, v17, 2.0, -v32
	;; [unrolled: 1-line block ×6, first 2 shown]
	v_add_lshl_u32 v26, v30, v26, 2
	v_pack_b32_f16 v20, v22, v20
	v_pack_b32_f16 v17, v24, v17
	;; [unrolled: 1-line block ×6, first 2 shown]
	v_perm_b32 v24, v58, v18, 0x5040100
	v_perm_b32 v25, v57, v19, 0x5040100
	ds_store_2addr_b32 v26, v20, v17 offset1:30
	ds_store_2addr_b32 v26, v21, v16 offset0:60 offset1:90
	ds_store_2addr_b32 v26, v22, v23 offset0:120 offset1:150
	;; [unrolled: 1-line block ×3, first 2 shown]
.LBB0_11:
	s_or_b32 exec_lo, exec_lo, s1
	v_lshlrev_b64 v[16:17], 3, v[14:15]
	v_lshlrev_b32_e32 v20, 3, v28
	s_waitcnt lgkmcnt(0)
	s_barrier
	buffer_gl0_inv
	v_add_nc_u32_e32 v22, 0x200, v33
	v_add_co_u32 v16, s1, s2, v16
	global_load_b64 v[14:15], v20, s[2:3] offset:920
	v_add_co_ci_u32_e64 v17, s1, s3, v17, s1
	v_add_nc_u32_e32 v24, 0x600, v33
	v_lshl_add_u32 v32, v28, 2, v31
	v_add_nc_u32_e32 v56, v29, v31
	global_load_b64 v[16:17], v[16:17], off offset:920
	ds_load_2addr_b32 v[20:21], v33 offset1:120
	ds_load_2addr_b32 v[22:23], v22 offset0:112 offset1:232
	ds_load_2addr_b32 v[24:25], v24 offset0:96 offset1:216
	v_add_nc_u32_e32 v26, 0x3c0, v32
	v_add_nc_u32_e32 v27, 0x580, v56
	s_waitcnt lgkmcnt(2)
	v_lshrrev_b32_e32 v60, 16, v20
	s_waitcnt lgkmcnt(1)
	v_lshrrev_b32_e32 v61, 16, v22
	;; [unrolled: 2-line block ×3, first 2 shown]
	v_lshrrev_b32_e32 v63, 16, v23
	v_lshrrev_b32_e32 v64, 16, v25
	;; [unrolled: 1-line block ×3, first 2 shown]
	s_waitcnt vmcnt(1)
	v_lshrrev_b32_e32 v52, 16, v14
	v_lshrrev_b32_e32 v53, 16, v15
	s_delay_alu instid0(VALU_DEP_2) | instskip(SKIP_1) | instid1(VALU_DEP_3)
	v_mul_f16_e32 v65, v61, v52
	v_mul_f16_e32 v66, v22, v52
	v_mul_f16_e32 v67, v62, v53
	v_mul_f16_e32 v68, v24, v53
	s_waitcnt vmcnt(0)
	v_lshrrev_b32_e32 v55, 16, v16
	v_lshrrev_b32_e32 v54, 16, v17
	v_fma_f16 v22, v22, v14, -v65
	v_fmac_f16_e32 v66, v61, v14
	v_fma_f16 v24, v24, v15, -v67
	v_fmac_f16_e32 v68, v62, v15
	v_mul_f16_e32 v61, v63, v55
	v_mul_f16_e32 v62, v23, v55
	;; [unrolled: 1-line block ×4, first 2 shown]
	v_sub_f16_e32 v71, v66, v68
	v_add_f16_e32 v72, v60, v66
	v_add_f16_e32 v66, v66, v68
	v_fma_f16 v23, v23, v16, -v61
	v_fmac_f16_e32 v62, v63, v16
	v_fma_f16 v25, v25, v17, -v65
	v_fmac_f16_e32 v67, v64, v17
	v_add_f16_e32 v69, v20, v22
	v_add_f16_e32 v70, v22, v24
	v_fmac_f16_e32 v60, -0.5, v66
	v_add_f16_e32 v63, v23, v25
	v_add_f16_e32 v66, v62, v67
	v_sub_f16_e32 v73, v22, v24
	v_add_f16_e32 v22, v69, v24
	v_fma_f16 v24, -0.5, v70, v20
	v_add_f16_e32 v20, v21, v23
	v_add_f16_e32 v65, v59, v62
	;; [unrolled: 1-line block ×3, first 2 shown]
	v_sub_f16_e32 v64, v62, v67
	v_sub_f16_e32 v68, v23, v25
	v_fmac_f16_e32 v21, -0.5, v63
	v_fmac_f16_e32 v59, -0.5, v66
	v_fmamk_f16 v23, v71, 0x3aee, v24
	v_fmac_f16_e32 v24, 0xbaee, v71
	v_fmamk_f16 v62, v73, 0xbaee, v60
	v_fmac_f16_e32 v60, 0x3aee, v73
	v_add_f16_e32 v25, v20, v25
	v_add_f16_e32 v63, v65, v67
	v_fmamk_f16 v20, v64, 0x3aee, v21
	v_fmac_f16_e32 v21, 0xbaee, v64
	v_fmamk_f16 v64, v68, 0xbaee, v59
	v_fmac_f16_e32 v59, 0x3aee, v68
	v_pack_b32_f16 v65, v23, v62
	v_pack_b32_f16 v66, v24, v60
	;; [unrolled: 1-line block ×6, first 2 shown]
	ds_store_2addr_b32 v26, v65, v66 offset1:240
	ds_store_2addr_b32 v32, v69, v67 offset1:120
	ds_store_2addr_b32 v27, v68, v70 offset0:8 offset1:248
	s_waitcnt lgkmcnt(0)
	s_barrier
	buffer_gl0_inv
	s_and_saveexec_b32 s1, vcc_lo
	s_cbranch_execz .LBB0_13
; %bb.12:
	s_add_u32 s2, s10, 0xb40
	s_addc_u32 s3, s11, 0
	s_clause 0x9
	global_load_b32 v73, v29, s[10:11] offset:2880
	global_load_b32 v74, v29, s[2:3] offset:288
	;; [unrolled: 1-line block ×10, first 2 shown]
	v_add_nc_u32_e32 v83, 0x400, v32
	ds_load_2addr_b32 v[26:27], v32 offset1:72
	ds_load_2addr_b32 v[65:66], v32 offset0:144 offset1:216
	v_add_nc_u32_e32 v84, 0x800, v32
	ds_load_2addr_b32 v[67:68], v83 offset0:32 offset1:104
	ds_load_2addr_b32 v[69:70], v83 offset0:176 offset1:248
	;; [unrolled: 1-line block ×3, first 2 shown]
	s_waitcnt lgkmcnt(4)
	v_lshrrev_b32_e32 v85, 16, v26
	v_lshrrev_b32_e32 v86, 16, v27
	s_waitcnt lgkmcnt(3)
	v_lshrrev_b32_e32 v87, 16, v65
	v_lshrrev_b32_e32 v88, 16, v66
	;; [unrolled: 3-line block ×5, first 2 shown]
	s_waitcnt vmcnt(9)
	v_lshrrev_b32_e32 v95, 16, v73
	s_waitcnt vmcnt(8)
	v_lshrrev_b32_e32 v96, 16, v74
	;; [unrolled: 2-line block ×10, first 2 shown]
	v_mul_f16_e32 v105, v85, v95
	v_mul_f16_e32 v95, v26, v95
	;; [unrolled: 1-line block ×20, first 2 shown]
	v_fma_f16 v26, v26, v73, -v105
	v_fmac_f16_e32 v95, v85, v73
	v_fma_f16 v27, v27, v74, -v106
	v_fmac_f16_e32 v96, v86, v74
	;; [unrolled: 2-line block ×10, first 2 shown]
	v_pack_b32_f16 v26, v26, v95
	v_pack_b32_f16 v27, v27, v96
	;; [unrolled: 1-line block ×10, first 2 shown]
	ds_store_2addr_b32 v32, v26, v27 offset1:72
	ds_store_2addr_b32 v32, v65, v66 offset0:144 offset1:216
	ds_store_2addr_b32 v83, v67, v68 offset0:32 offset1:104
	;; [unrolled: 1-line block ×4, first 2 shown]
.LBB0_13:
	s_or_b32 exec_lo, exec_lo, s1
	s_waitcnt lgkmcnt(0)
	s_barrier
	buffer_gl0_inv
	s_and_saveexec_b32 s1, vcc_lo
	s_cbranch_execz .LBB0_15
; %bb.14:
	v_add_nc_u32_e32 v12, 0x400, v32
	v_add_nc_u32_e32 v13, 0x800, v32
	ds_load_2addr_b32 v[22:23], v32 offset1:72
	ds_load_2addr_b32 v[24:25], v32 offset0:144 offset1:216
	ds_load_2addr_b32 v[20:21], v12 offset0:32 offset1:104
	;; [unrolled: 1-line block ×4, first 2 shown]
	s_waitcnt lgkmcnt(4)
	v_lshrrev_b32_e32 v61, 16, v22
	v_lshrrev_b32_e32 v62, 16, v23
	s_waitcnt lgkmcnt(3)
	v_lshrrev_b32_e32 v60, 16, v24
	v_lshrrev_b32_e32 v63, 16, v25
	;; [unrolled: 3-line block ×5, first 2 shown]
.LBB0_15:
	s_or_b32 exec_lo, exec_lo, s1
	v_add_f16_e32 v65, v58, v64
	v_add_f16_e32 v74, v19, v21
	;; [unrolled: 1-line block ×4, first 2 shown]
	v_sub_f16_e32 v72, v40, v58
	v_fma_f16 v75, -0.5, v65, v61
	v_sub_f16_e32 v65, v60, v64
	v_fma_f16 v84, -0.5, v74, v23
	v_add_f16_e32 v74, v57, v59
	v_add_f16_e32 v78, v38, v63
	v_fma_f16 v71, -0.5, v26, v22
	v_fma_f16 v69, -0.5, v27, v22
	v_sub_f16_e32 v26, v24, v20
	v_sub_f16_e32 v27, v12, v18
	v_add_f16_e32 v88, v72, v65
	v_add_f16_e32 v65, v13, v25
	v_fma_f16 v95, -0.5, v74, v62
	v_sub_f16_e32 v91, v25, v13
	v_sub_f16_e32 v94, v21, v19
	v_fma_f16 v89, -0.5, v78, v62
	v_add_f16_e32 v87, v27, v26
	v_sub_f16_e32 v26, v20, v24
	v_sub_f16_e32 v27, v18, v12
	v_add_f16_e32 v66, v40, v60
	v_sub_f16_e32 v82, v63, v38
	v_sub_f16_e32 v85, v59, v57
	v_fma_f16 v86, -0.5, v65, v23
	v_fmamk_f16 v78, v91, 0x3b9c, v95
	v_sub_f16_e32 v81, v63, v59
	v_sub_f16_e32 v92, v38, v57
	v_fmamk_f16 v100, v94, 0xbb9c, v89
	v_sub_f16_e32 v93, v59, v63
	v_sub_f16_e32 v96, v57, v38
	;; [unrolled: 1-line block ×6, first 2 shown]
	v_add_f16_e32 v90, v27, v26
	v_fma_f16 v73, -0.5, v66, v61
	v_fmamk_f16 v26, v82, 0xbb9c, v84
	v_sub_f16_e32 v76, v25, v21
	v_sub_f16_e32 v65, v13, v19
	v_fmamk_f16 v99, v85, 0x3b9c, v86
	v_sub_f16_e32 v74, v21, v25
	v_sub_f16_e32 v98, v19, v13
	v_fmac_f16_e32 v78, 0x38b4, v94
	v_add_f16_e32 v97, v92, v81
	v_fmac_f16_e32 v100, 0x38b4, v91
	v_add_f16_e32 v92, v96, v93
	v_fmamk_f16 v67, v79, 0xbb9c, v71
	v_fmamk_f16 v68, v80, 0x3b9c, v69
	;; [unrolled: 1-line block ×4, first 2 shown]
	v_sub_f16_e32 v27, v64, v60
	v_sub_f16_e32 v66, v58, v40
	v_fmac_f16_e32 v26, 0xb8b4, v85
	v_add_f16_e32 v96, v65, v76
	v_fmac_f16_e32 v99, 0xb8b4, v82
	v_add_f16_e32 v93, v98, v74
	v_fmac_f16_e32 v78, 0x34f2, v97
	v_fmac_f16_e32 v100, 0x34f2, v92
	;; [unrolled: 1-line block ×6, first 2 shown]
	v_add_f16_e32 v98, v66, v27
	v_fmac_f16_e32 v26, 0x34f2, v96
	v_fmac_f16_e32 v99, 0x34f2, v93
	v_mul_f16_e32 v74, 0xb8b4, v78
	v_mul_f16_e32 v76, 0xbb9c, v100
	;; [unrolled: 1-line block ×4, first 2 shown]
	v_fmac_f16_e32 v67, 0x34f2, v87
	v_fmac_f16_e32 v68, 0x34f2, v90
	;; [unrolled: 1-line block ×8, first 2 shown]
	s_delay_alu instid0(VALU_DEP_4) | instskip(NEXT) | instid1(VALU_DEP_4)
	v_sub_f16_e32 v26, v67, v74
	v_sub_f16_e32 v27, v68, v76
	s_delay_alu instid0(VALU_DEP_4) | instskip(NEXT) | instid1(VALU_DEP_4)
	v_sub_f16_e32 v65, v70, v78
	v_sub_f16_e32 v66, v72, v81
	s_barrier
	buffer_gl0_inv
	s_and_saveexec_b32 s1, vcc_lo
	s_cbranch_execz .LBB0_17
; %bb.16:
	v_mul_f16_e32 v101, 0x3b9c, v77
	v_mul_f16_e32 v102, 0x38b4, v83
	;; [unrolled: 1-line block ×5, first 2 shown]
	v_sub_f16_e32 v75, v75, v101
	v_mul_f16_e32 v94, 0x3b9c, v94
	v_mul_f16_e32 v104, 0x3b9c, v82
	v_sub_f16_e32 v95, v95, v103
	v_mul_f16_e32 v103, 0x38b4, v85
	v_sub_f16_e32 v75, v75, v102
	v_mul_f16_e32 v85, 0x3b9c, v85
	v_mul_f16_e32 v91, 0x38b4, v91
	v_add_f16_e32 v60, v60, v61
	v_mul_f16_e32 v100, 0x38b4, v80
	v_add_f16_e32 v75, v88, v75
	v_add_f16_e32 v88, v94, v89
	v_mul_f16_e32 v80, 0x3b9c, v80
	v_mul_f16_e32 v83, 0x3b9c, v83
	;; [unrolled: 1-line block ×3, first 2 shown]
	v_add_f16_e32 v84, v104, v84
	v_sub_f16_e32 v95, v95, v105
	v_mul_f16_e32 v82, 0x38b4, v82
	v_mul_f16_e32 v92, 0x34f2, v92
	v_sub_f16_e32 v85, v86, v85
	v_sub_f16_e32 v86, v88, v91
	v_add_f16_e32 v62, v63, v62
	v_add_f16_e32 v22, v24, v22
	;; [unrolled: 1-line block ×3, first 2 shown]
	v_mul_f16_e32 v99, 0x3b9c, v79
	v_add_f16_e32 v60, v64, v60
	v_mul_f16_e32 v79, 0x38b4, v79
	v_mul_f16_e32 v77, 0x38b4, v77
	;; [unrolled: 1-line block ×3, first 2 shown]
	v_add_f16_e32 v84, v103, v84
	v_add_f16_e32 v95, v97, v95
	v_mul_f16_e32 v89, 0x34f2, v93
	v_add_f16_e32 v61, v83, v73
	v_add_f16_e32 v73, v82, v85
	v_add_f16_e32 v82, v92, v86
	v_add_f16_e32 v59, v59, v62
	v_sub_f16_e32 v25, v69, v80
	v_add_f16_e32 v20, v20, v22
	v_add_f16_e32 v21, v21, v23
	;; [unrolled: 1-line block ×4, first 2 shown]
	v_mul_f16_e32 v90, 0x34f2, v90
	v_mul_f16_e32 v98, 0x34f2, v98
	v_add_f16_e32 v84, v96, v84
	v_sub_f16_e32 v61, v61, v77
	v_add_f16_e32 v63, v89, v73
	v_mul_f16_e32 v64, 0xb4f2, v82
	v_add_f16_e32 v57, v57, v59
	v_mul_f16_e32 v22, 0x38b4, v95
	;; [unrolled: 2-line block ×3, first 2 shown]
	v_add_f16_e32 v18, v18, v20
	v_add_f16_e32 v19, v19, v21
	v_mul_f16_e32 v87, 0x34f2, v87
	v_mul_f16_e32 v96, 0xba79, v95
	v_add_f16_e32 v40, v40, v58
	v_add_f16_e32 v58, v100, v60
	;; [unrolled: 1-line block ×3, first 2 shown]
	v_fmac_f16_e32 v64, 0x3b9c, v63
	v_add_f16_e32 v24, v38, v57
	v_fma_f16 v20, v84, 0xba79, -v22
	v_add_f16_e32 v21, v90, v23
	v_fma_f16 v22, v63, 0xb4f2, -v25
	v_add_f16_e32 v12, v12, v18
	v_add_f16_e32 v13, v13, v19
	v_fmac_f16_e32 v96, 0x38b4, v84
	v_add_f16_e32 v38, v87, v58
	v_sub_f16_e32 v57, v61, v64
	v_sub_f16_e32 v23, v40, v24
	v_sub_f16_e32 v58, v21, v22
	v_sub_f16_e32 v59, v12, v13
	v_add_f16_e32 v18, v61, v64
	v_add_f16_e32 v61, v72, v81
	;; [unrolled: 1-line block ×4, first 2 shown]
	v_and_b32_e32 v24, 0xffff, v35
	v_add_f16_e32 v12, v13, v12
	v_add_f16_e32 v13, v21, v22
	;; [unrolled: 1-line block ×4, first 2 shown]
	v_sub_f16_e32 v25, v38, v20
	v_add_f16_e32 v60, v75, v96
	v_add_f16_e32 v20, v38, v20
	v_sub_f16_e32 v88, v75, v96
	v_lshl_add_u32 v35, v24, 2, v31
	v_pack_b32_f16 v12, v12, v19
	v_pack_b32_f16 v19, v13, v18
	v_pack_b32_f16 v18, v21, v61
	v_pack_b32_f16 v13, v22, v62
	v_pack_b32_f16 v21, v59, v23
	v_pack_b32_f16 v20, v20, v60
	v_perm_b32 v23, v66, v27, 0x5040100
	v_perm_b32 v22, v65, v26, 0x5040100
	v_pack_b32_f16 v25, v25, v88
	v_pack_b32_f16 v24, v58, v57
	ds_store_2addr_b64 v35, v[12:13], v[18:19] offset1:1
	ds_store_2addr_b64 v35, v[20:21], v[22:23] offset0:2 offset1:3
	ds_store_b64 v35, v[24:25] offset:32
.LBB0_17:
	s_or_b32 exec_lo, exec_lo, s1
	v_add_nc_u32_e32 v18, 0x200, v33
	v_add_nc_u32_e32 v19, 0x600, v33
	s_waitcnt lgkmcnt(0)
	s_barrier
	buffer_gl0_inv
	ds_load_2addr_b32 v[12:13], v33 offset1:120
	ds_load_2addr_b32 v[21:22], v18 offset0:112 offset1:232
	ds_load_2addr_b32 v[23:24], v19 offset0:96 offset1:216
	s_waitcnt lgkmcnt(0)
	s_barrier
	buffer_gl0_inv
	v_lshrrev_b32_e32 v19, 16, v12
	v_lshrrev_b32_e32 v25, 16, v21
	v_lshrrev_b32_e32 v35, 16, v23
	v_lshrrev_b32_e32 v38, 16, v22
	v_lshrrev_b32_e32 v40, 16, v24
	v_mul_f16_e32 v57, v48, v21
	v_mul_f16_e32 v58, v49, v23
	;; [unrolled: 1-line block ×8, first 2 shown]
	v_fma_f16 v25, v8, v25, -v57
	v_fma_f16 v35, v9, v35, -v58
	;; [unrolled: 1-line block ×4, first 2 shown]
	v_fmac_f16_e32 v48, v8, v21
	v_fmac_f16_e32 v49, v9, v23
	v_lshrrev_b32_e32 v20, 16, v13
	v_fmac_f16_e32 v51, v10, v22
	v_fmac_f16_e32 v50, v11, v24
	v_sub_f16_e32 v11, v25, v35
	v_add_f16_e32 v8, v19, v25
	v_add_f16_e32 v9, v25, v35
	;; [unrolled: 1-line block ×4, first 2 shown]
	v_sub_f16_e32 v22, v38, v40
	v_add_f16_e32 v24, v20, v38
	v_add_f16_e32 v38, v51, v50
	;; [unrolled: 1-line block ×3, first 2 shown]
	v_fmac_f16_e32 v19, -0.5, v9
	v_sub_f16_e32 v9, v48, v49
	v_fmac_f16_e32 v20, -0.5, v10
	v_fma_f16 v10, -0.5, v25, v12
	v_add_f16_e32 v21, v8, v35
	v_add_f16_e32 v35, v13, v51
	v_fmac_f16_e32 v13, -0.5, v38
	v_sub_f16_e32 v25, v51, v50
	v_add_f16_e32 v8, v23, v49
	v_fmamk_f16 v23, v9, 0x3aee, v19
	v_fmac_f16_e32 v19, 0xbaee, v9
	v_fmamk_f16 v9, v11, 0xbaee, v10
	v_fmac_f16_e32 v10, 0x3aee, v11
	v_add_f16_e32 v11, v35, v50
	v_fmamk_f16 v12, v22, 0xbaee, v13
	v_fmac_f16_e32 v13, 0x3aee, v22
	v_add_f16_e32 v24, v24, v40
	v_fmamk_f16 v22, v25, 0x3aee, v20
	v_fmac_f16_e32 v20, 0xbaee, v25
	v_pack_b32_f16 v25, v8, v21
	v_pack_b32_f16 v35, v9, v23
	;; [unrolled: 1-line block ×6, first 2 shown]
	ds_store_2addr_b32 v36, v25, v35 offset1:10
	ds_store_b32 v36, v38 offset:80
	ds_store_2addr_b32 v37, v40, v48 offset1:10
	ds_store_b32 v37, v49 offset:80
	s_waitcnt lgkmcnt(0)
	s_barrier
	buffer_gl0_inv
	s_and_saveexec_b32 s1, s0
	s_cbranch_execz .LBB0_19
; %bb.18:
	v_add_nc_u32_e32 v12, 0x400, v33
	v_add_nc_u32_e32 v19, 0x800, v33
	ds_load_2addr_b32 v[8:9], v33 offset1:90
	ds_load_2addr_b32 v[10:11], v18 offset0:52 offset1:142
	ds_load_2addr_b32 v[12:13], v12 offset0:104 offset1:194
	;; [unrolled: 1-line block ×3, first 2 shown]
	s_waitcnt lgkmcnt(3)
	v_lshrrev_b32_e32 v21, 16, v8
	v_lshrrev_b32_e32 v23, 16, v9
	s_waitcnt lgkmcnt(2)
	v_lshrrev_b32_e32 v19, 16, v10
	v_lshrrev_b32_e32 v24, 16, v11
	;; [unrolled: 3-line block ×4, first 2 shown]
.LBB0_19:
	s_or_b32 exec_lo, exec_lo, s1
	v_add_nc_u32_e32 v18, 0x1e0, v56
	s_barrier
	buffer_gl0_inv
	s_and_saveexec_b32 s1, s0
	s_cbranch_execz .LBB0_21
; %bb.20:
	v_mul_f16_e32 v37, v44, v9
	v_mul_f16_e32 v38, v45, v13
	;; [unrolled: 1-line block ×5, first 2 shown]
	v_fma_f16 v37, v0, v23, -v37
	v_fma_f16 v38, v4, v20, -v38
	v_fmac_f16_e32 v40, v2, v11
	v_mul_f16_e32 v11, v47, v11
	v_mul_f16_e32 v47, v46, v27
	;; [unrolled: 1-line block ×6, first 2 shown]
	v_fma_f16 v2, v2, v24, -v11
	v_fma_f16 v11, v6, v66, -v47
	v_fmac_f16_e32 v23, v0, v9
	v_fmac_f16_e32 v20, v4, v13
	v_mul_f16_e32 v0, v41, v19
	v_mul_f16_e32 v4, v42, v65
	v_fma_f16 v25, v1, v19, -v25
	v_fma_f16 v35, v5, v65, -v35
	v_fmac_f16_e32 v36, v3, v12
	v_fmac_f16_e32 v44, v6, v27
	v_sub_f16_e32 v6, v2, v11
	v_mul_f16_e32 v11, v39, v12
	v_fmac_f16_e32 v0, v1, v10
	v_fmac_f16_e32 v4, v5, v26
	v_sub_f16_e32 v35, v25, v35
	v_sub_f16_e32 v36, v8, v36
	;; [unrolled: 1-line block ×4, first 2 shown]
	v_fma_f16 v3, v3, v22, -v11
	v_sub_f16_e32 v4, v0, v4
	v_add_f16_e32 v48, v35, v36
	v_sub_f16_e32 v1, v40, v44
	v_add_f16_e32 v5, v6, v9
	v_sub_f16_e32 v3, v21, v3
	v_fma_f16 v8, v8, 2.0, -v36
	v_fma_f16 v0, v0, 2.0, -v4
	;; [unrolled: 1-line block ×4, first 2 shown]
	v_sub_f16_e32 v10, v38, v1
	v_fmamk_f16 v11, v5, 0x39a8, v48
	v_sub_f16_e32 v4, v3, v4
	v_sub_f16_e32 v0, v8, v0
	;; [unrolled: 1-line block ×3, first 2 shown]
	v_fma_f16 v6, v21, 2.0, -v3
	v_fma_f16 v13, v25, 2.0, -v35
	;; [unrolled: 1-line block ×4, first 2 shown]
	v_fmac_f16_e32 v11, 0x39a8, v10
	v_fmamk_f16 v21, v10, 0x39a8, v4
	v_add_f16_e32 v22, v0, v2
	v_sub_f16_e32 v13, v6, v13
	v_sub_f16_e32 v1, v19, v1
	v_fma_f16 v23, v36, 2.0, -v48
	v_fma_f16 v9, v9, 2.0, -v5
	;; [unrolled: 1-line block ×4, first 2 shown]
	v_fmac_f16_e32 v21, 0xb9a8, v5
	v_fma_f16 v5, v0, 2.0, -v22
	v_sub_f16_e32 v24, v13, v1
	v_fmamk_f16 v25, v9, 0xb9a8, v23
	v_fma_f16 v0, v8, 2.0, -v0
	v_fma_f16 v1, v19, 2.0, -v1
	;; [unrolled: 1-line block ×4, first 2 shown]
	v_fmamk_f16 v8, v10, 0xb9a8, v3
	v_fmac_f16_e32 v25, 0x39a8, v10
	v_sub_f16_e32 v1, v0, v1
	v_mul_u32_u24_e32 v10, 0xf0, v43
	v_sub_f16_e32 v2, v6, v2
	v_fmac_f16_e32 v8, 0xb9a8, v9
	v_fma_f16 v9, v23, 2.0, -v25
	v_fma_f16 v0, v0, 2.0, -v1
	v_add_nc_u32_e32 v10, v10, v34
	v_fma_f16 v6, v6, 2.0, -v2
	v_fma_f16 v3, v3, 2.0, -v8
	;; [unrolled: 1-line block ×5, first 2 shown]
	v_lshl_add_u32 v10, v10, 2, v31
	v_pack_b32_f16 v0, v0, v6
	v_pack_b32_f16 v3, v9, v3
	;; [unrolled: 1-line block ×8, first 2 shown]
	ds_store_2addr_b32 v10, v0, v3 offset1:30
	ds_store_2addr_b32 v10, v5, v4 offset0:60 offset1:90
	ds_store_2addr_b32 v10, v1, v2 offset0:120 offset1:150
	;; [unrolled: 1-line block ×3, first 2 shown]
.LBB0_21:
	s_or_b32 exec_lo, exec_lo, s1
	v_add_nc_u32_e32 v2, 0x200, v33
	v_add_nc_u32_e32 v4, 0x600, v33
	s_waitcnt lgkmcnt(0)
	s_barrier
	buffer_gl0_inv
	ds_load_2addr_b32 v[0:1], v33 offset1:120
	ds_load_2addr_b32 v[2:3], v2 offset0:112 offset1:232
	ds_load_2addr_b32 v[4:5], v4 offset0:96 offset1:216
	s_waitcnt lgkmcnt(2)
	v_lshrrev_b32_e32 v6, 16, v0
	s_waitcnt lgkmcnt(1)
	v_lshrrev_b32_e32 v9, 16, v2
	;; [unrolled: 2-line block ×3, first 2 shown]
	v_mul_f16_e32 v13, v52, v2
	v_lshrrev_b32_e32 v11, 16, v3
	v_lshrrev_b32_e32 v12, 16, v5
	v_mul_f16_e32 v19, v53, v4
	v_mul_f16_e32 v20, v55, v3
	;; [unrolled: 1-line block ×3, first 2 shown]
	v_fma_f16 v9, v14, v9, -v13
	v_mul_f16_e32 v13, v53, v10
	v_fma_f16 v10, v15, v10, -v19
	v_mul_f16_e32 v19, v55, v11
	;; [unrolled: 2-line block ×3, first 2 shown]
	v_mul_f16_e32 v21, v54, v5
	v_fmac_f16_e32 v22, v14, v2
	v_fmac_f16_e32 v13, v15, v4
	;; [unrolled: 1-line block ×4, first 2 shown]
	v_lshrrev_b32_e32 v8, 16, v1
	v_fma_f16 v12, v17, v12, -v21
	v_add_f16_e32 v4, v9, v10
	v_add_f16_e32 v15, v22, v13
	;; [unrolled: 1-line block ×4, first 2 shown]
	v_sub_f16_e32 v2, v9, v10
	v_sub_f16_e32 v5, v11, v12
	v_add_f16_e32 v9, v8, v11
	v_add_f16_e32 v11, v11, v12
	;; [unrolled: 1-line block ×3, first 2 shown]
	v_fmac_f16_e32 v6, -0.5, v4
	v_sub_f16_e32 v4, v22, v13
	v_fma_f16 v0, -0.5, v15, v0
	v_add_f16_e32 v3, v3, v10
	v_add_f16_e32 v10, v1, v19
	v_fmac_f16_e32 v1, -0.5, v16
	v_fmac_f16_e32 v8, -0.5, v11
	v_add_f16_e32 v11, v14, v13
	v_fmamk_f16 v13, v4, 0x3aee, v6
	v_fmac_f16_e32 v6, 0xbaee, v4
	v_fmamk_f16 v4, v2, 0xbaee, v0
	v_fmac_f16_e32 v0, 0x3aee, v2
	v_sub_f16_e32 v2, v19, v20
	v_add_f16_e32 v10, v10, v20
	v_fmamk_f16 v14, v5, 0xbaee, v1
	v_fmac_f16_e32 v1, 0x3aee, v5
	v_add_f16_e32 v5, v9, v12
	v_fmamk_f16 v9, v2, 0x3aee, v8
	v_fmac_f16_e32 v8, 0xbaee, v2
	v_pack_b32_f16 v2, v11, v3
	v_pack_b32_f16 v3, v4, v13
	;; [unrolled: 1-line block ×3, first 2 shown]
	v_add_nc_u32_e32 v4, 0x3c0, v32
	v_pack_b32_f16 v5, v10, v5
	v_pack_b32_f16 v6, v14, v9
	;; [unrolled: 1-line block ×3, first 2 shown]
	v_add_nc_u32_e32 v8, 0x3c0, v18
	ds_store_2addr_b32 v4, v3, v0 offset1:240
	ds_store_2addr_b32 v32, v2, v5 offset1:120
	;; [unrolled: 1-line block ×3, first 2 shown]
	s_waitcnt lgkmcnt(0)
	s_barrier
	buffer_gl0_inv
	s_and_b32 exec_lo, exec_lo, vcc_lo
	s_cbranch_execz .LBB0_23
; %bb.22:
	s_clause 0x6
	global_load_b32 v0, v29, s[10:11]
	global_load_b32 v1, v29, s[10:11] offset:288
	global_load_b32 v8, v29, s[10:11] offset:576
	;; [unrolled: 1-line block ×6, first 2 shown]
	v_lshl_add_u32 v2, v30, 2, v29
	ds_load_b32 v23, v32
	v_mad_u64_u32 v[10:11], null, s6, v7, 0
	v_mad_u64_u32 v[14:15], null, s4, v28, 0
	v_add_nc_u32_e32 v3, 0x200, v2
	ds_load_2addr_b32 v[12:13], v2 offset0:72 offset1:144
	s_mov_b32 s20, 0x16c16c17
	s_mov_b32 s21, 0x3f56c16c
	s_mul_i32 s0, s5, 0x120
	ds_load_2addr_b32 v[16:17], v3 offset0:88 offset1:160
	s_mul_hi_u32 s22, s4, 0x120
	s_mul_i32 s19, s4, 0x120
	s_add_i32 s22, s22, s0
	s_waitcnt lgkmcnt(1)
	v_mad_u64_u32 v[20:21], null, s7, v7, v[11:12]
	v_lshrrev_b32_e32 v7, 16, v23
	v_lshrrev_b32_e32 v11, 16, v12
	s_waitcnt lgkmcnt(0)
	v_mad_u64_u32 v[21:22], null, s5, v28, v[15:16]
	v_lshrrev_b32_e32 v26, 16, v16
	v_lshrrev_b32_e32 v28, 16, v17
	v_add_nc_u32_e32 v4, 0x400, v2
	v_lshrrev_b32_e32 v15, 16, v13
	s_waitcnt vmcnt(6)
	v_lshrrev_b32_e32 v22, 16, v0
	s_waitcnt vmcnt(5)
	;; [unrolled: 2-line block ×5, first 2 shown]
	v_lshrrev_b32_e32 v32, 16, v31
	v_mul_f16_e32 v30, v7, v22
	v_mul_f16_e32 v22, v23, v22
	;; [unrolled: 1-line block ×5, first 2 shown]
	v_fmac_f16_e32 v30, v23, v0
	v_fma_f16 v0, v0, v7, -v22
	v_fmac_f16_e32 v35, v12, v1
	v_mul_f16_e32 v25, v13, v25
	v_fmac_f16_e32 v37, v13, v8
	v_cvt_f32_f16_e32 v7, v30
	v_mul_f16_e32 v30, v26, v27
	v_cvt_f32_f16_e32 v0, v0
	v_cvt_f32_f16_e32 v12, v35
	v_mul_f16_e32 v35, v28, v32
	v_cvt_f64_f32_e32 v[22:23], v7
	v_fma_f16 v7, v1, v11, -v24
	v_mul_f16_e32 v11, v16, v27
	v_fmac_f16_e32 v30, v16, v9
	v_cvt_f64_f32_e32 v[0:1], v0
	v_mul_f16_e32 v32, v17, v32
	v_fmac_f16_e32 v35, v17, v31
	v_fma_f16 v9, v9, v26, -v11
	v_cvt_f32_f16_e32 v11, v30
	v_cvt_f64_f32_e32 v[12:13], v12
	v_cvt_f32_f16_e32 v7, v7
	v_fma_f16 v15, v8, v15, -v25
	v_cvt_f32_f16_e32 v24, v37
	v_cvt_f64_f32_e32 v[16:17], v11
	v_mov_b32_e32 v11, v20
	ds_load_2addr_b32 v[18:19], v4 offset0:104 offset1:176
	v_cvt_f64_f32_e32 v[7:8], v7
	v_cvt_f32_f16_e32 v15, v15
	v_cvt_f64_f32_e32 v[24:25], v24
	s_clause 0x2
	global_load_b32 v3, v29, s[10:11] offset:2016
	global_load_b32 v4, v29, s[10:11] offset:2304
	;; [unrolled: 1-line block ×3, first 2 shown]
	s_waitcnt vmcnt(4)
	v_lshrrev_b32_e32 v34, 16, v33
	v_cvt_f32_f16_e32 v9, v9
	v_cvt_f64_f32_e32 v[26:27], v15
	v_fma_f16 v15, v31, v28, -v32
	v_cvt_f32_f16_e32 v30, v35
	ds_load_b32 v6, v2 offset:2592
	v_add_nc_u32_e32 v2, 0x600, v2
	v_cvt_f32_f16_e32 v20, v15
	v_cvt_f64_f32_e32 v[30:31], v30
	v_mov_b32_e32 v15, v21
	s_delay_alu instid0(VALU_DEP_3) | instskip(SKIP_2) | instid1(VALU_DEP_3)
	v_cvt_f64_f32_e32 v[20:21], v20
	s_waitcnt lgkmcnt(1)
	v_lshrrev_b32_e32 v29, 16, v18
	v_lshlrev_b64 v[14:15], 2, v[14:15]
	v_mul_f64 v[22:23], v[22:23], s[20:21]
	s_delay_alu instid0(VALU_DEP_3) | instskip(SKIP_2) | instid1(VALU_DEP_3)
	v_mul_f16_e32 v37, v29, v34
	v_mul_f16_e32 v34, v18, v34
	v_mul_f64 v[0:1], v[0:1], s[20:21]
	v_fmac_f16_e32 v37, v18, v33
	s_delay_alu instid0(VALU_DEP_3)
	v_fma_f16 v18, v33, v29, -v34
	v_cvt_f64_f32_e32 v[28:29], v9
	v_lshlrev_b64 v[9:10], 2, v[10:11]
	v_mul_f64 v[11:12], v[12:13], s[20:21]
	v_cvt_f32_f16_e32 v32, v37
	v_cvt_f32_f16_e32 v18, v18
	v_lshrrev_b32_e32 v37, 16, v19
	v_add_co_u32 v9, vcc_lo, s8, v9
	s_delay_alu instid0(VALU_DEP_4) | instskip(NEXT) | instid1(VALU_DEP_4)
	v_cvt_f64_f32_e32 v[32:33], v32
	v_cvt_f64_f32_e32 v[34:35], v18
	s_waitcnt vmcnt(3)
	v_lshrrev_b32_e32 v18, 16, v36
	v_mul_f64 v[7:8], v[7:8], s[20:21]
	v_add_co_ci_u32_e32 v10, vcc_lo, s9, v10, vcc_lo
	v_add_co_u32 v9, vcc_lo, v9, v14
	s_delay_alu instid0(VALU_DEP_4) | instskip(SKIP_3) | instid1(VALU_DEP_4)
	v_mul_f16_e32 v38, v37, v18
	v_mul_f64 v[13:14], v[24:25], s[20:21]
	v_mul_f16_e32 v39, v19, v18
	v_add_co_ci_u32_e32 v10, vcc_lo, v10, v15, vcc_lo
	v_fmac_f16_e32 v38, v19, v36
	v_mul_f64 v[18:19], v[26:27], s[20:21]
	v_mul_f64 v[15:16], v[16:17], s[20:21]
	v_add_co_u32 v24, vcc_lo, v9, s19
	v_add_co_ci_u32_e32 v25, vcc_lo, s22, v10, vcc_lo
	v_and_or_b32 v22, 0x1ff, v23, v22
	v_mul_f64 v[30:31], v[30:31], s[20:21]
	v_mul_f64 v[20:21], v[20:21], s[20:21]
	v_fma_f16 v17, v36, v37, -v39
	v_and_or_b32 v0, 0x1ff, v1, v0
	v_cvt_f32_f16_e32 v36, v38
	v_lshrrev_b32_e32 v38, 8, v23
	v_bfe_u32 v39, v23, 20, 11
	v_bfe_u32 v41, v1, 20, 11
	v_mul_f64 v[26:27], v[28:29], s[20:21]
	v_add_co_u32 v28, vcc_lo, v24, s19
	v_add_co_ci_u32_e32 v29, vcc_lo, s22, v25, vcc_lo
	v_cmp_ne_u32_e32 vcc_lo, 0, v22
	v_and_or_b32 v11, 0x1ff, v12, v11
	v_lshrrev_b32_e32 v40, 8, v1
	v_sub_nc_u32_e32 v60, 0x3f1, v39
	v_mul_f64 v[32:33], v[32:33], s[20:21]
	v_cndmask_b32_e64 v22, 0, 1, vcc_lo
	v_cmp_ne_u32_e32 vcc_lo, 0, v0
	v_and_or_b32 v7, 0x1ff, v8, v7
	v_add_nc_u32_e32 v39, 0xfffffc10, v39
	v_sub_nc_u32_e32 v61, 0x3f1, v41
	v_and_or_b32 v22, 0xffe, v38, v22
	v_cndmask_b32_e64 v0, 0, 1, vcc_lo
	v_cmp_ne_u32_e32 vcc_lo, 0, v11
	v_and_or_b32 v13, 0x1ff, v14, v13
	v_med3_i32 v38, v60, 0, 13
	v_or_b32_e32 v60, 0x1000, v22
	v_and_or_b32 v0, 0xffe, v40, v0
	v_cndmask_b32_e64 v11, 0, 1, vcc_lo
	v_cmp_ne_u32_e32 vcc_lo, 0, v7
	v_and_or_b32 v18, 0x1ff, v19, v18
	v_and_or_b32 v15, 0x1ff, v16, v15
	v_med3_i32 v40, v61, 0, 13
	v_lshl_or_b32 v61, v39, 12, v22
	v_cndmask_b32_e64 v7, 0, 1, vcc_lo
	v_cmp_ne_u32_e32 vcc_lo, 0, v13
	v_and_or_b32 v30, 0x1ff, v31, v30
	v_and_or_b32 v20, 0x1ff, v21, v20
	v_lshrrev_b32_e32 v56, 8, v21
	v_bfe_u32 v57, v21, 20, 11
	v_cndmask_b32_e64 v13, 0, 1, vcc_lo
	v_cmp_ne_u32_e32 vcc_lo, 0, v18
	v_lshrrev_b32_e32 v54, 8, v31
	v_bfe_u32 v55, v31, 20, 11
	v_and_or_b32 v26, 0x1ff, v27, v26
	v_sub_nc_u32_e32 v69, 0x3f1, v57
	v_cndmask_b32_e64 v18, 0, 1, vcc_lo
	v_cmp_ne_u32_e32 vcc_lo, 0, v15
	v_lshrrev_b32_e32 v52, 8, v27
	v_bfe_u32 v53, v27, 20, 11
	v_sub_nc_u32_e32 v68, 0x3f1, v55
	v_lshrrev_b32_e32 v50, 8, v16
	v_cndmask_b32_e64 v15, 0, 1, vcc_lo
	v_cmp_ne_u32_e32 vcc_lo, 0, v26
	v_and_or_b32 v32, 0x1ff, v33, v32
	v_bfe_u32 v51, v16, 20, 11
	v_sub_nc_u32_e32 v67, 0x3f1, v53
	v_lshrrev_b32_e32 v48, 8, v19
	v_cndmask_b32_e64 v26, 0, 1, vcc_lo
	v_cmp_ne_u32_e32 vcc_lo, 0, v30
	v_bfe_u32 v49, v19, 20, 11
	v_sub_nc_u32_e32 v66, 0x3f1, v51
	v_and_or_b32 v15, 0xffe, v50, v15
	v_and_or_b32 v26, 0xffe, v52, v26
	v_cndmask_b32_e64 v30, 0, 1, vcc_lo
	v_cmp_ne_u32_e32 vcc_lo, 0, v20
	v_lshrrev_b32_e32 v46, 8, v14
	v_bfe_u32 v47, v14, 20, 11
	v_sub_nc_u32_e32 v65, 0x3f1, v49
	v_and_or_b32 v30, 0xffe, v54, v30
	v_cndmask_b32_e64 v20, 0, 1, vcc_lo
	v_cmp_ne_u32_e32 vcc_lo, 0, v32
	v_and_or_b32 v18, 0xffe, v48, v18
	v_lshrrev_b32_e32 v44, 8, v8
	v_bfe_u32 v45, v8, 20, 11
	v_and_or_b32 v20, 0xffe, v56, v20
	v_cndmask_b32_e64 v32, 0, 1, vcc_lo
	v_cmp_ne_u32_e32 vcc_lo, 0, v22
	v_sub_nc_u32_e32 v64, 0x3f1, v47
	v_and_or_b32 v13, 0xffe, v46, v13
	v_lshrrev_b32_e32 v42, 8, v12
	v_bfe_u32 v43, v12, 20, 11
	v_cndmask_b32_e64 v22, 0, 1, vcc_lo
	v_sub_nc_u32_e32 v63, 0x3f1, v45
	v_and_or_b32 v7, 0xffe, v44, v7
	v_med3_i32 v56, v69, 0, 13
	v_sub_nc_u32_e32 v62, 0x3f1, v43
	v_lshl_or_b32 v22, v22, 9, 0x7c00
	v_add_nc_u32_e32 v57, 0xfffffc10, v57
	v_and_or_b32 v11, 0xffe, v42, v11
	v_med3_i32 v52, v67, 0, 13
	v_med3_i32 v48, v65, 0, 13
	v_cmp_ne_u32_e32 vcc_lo, 0, v0
	v_lshl_or_b32 v79, v57, 12, v20
	v_add_nc_u32_e32 v55, 0xfffffc10, v55
	v_med3_i32 v42, v62, 0, 13
	v_med3_i32 v44, v63, 0, 13
	v_or_b32_e32 v62, 0x1000, v0
	v_med3_i32 v46, v64, 0, 13
	v_lshl_or_b32 v77, v55, 12, v30
	v_add_nc_u32_e32 v53, 0xfffffc10, v53
	v_or_b32_e32 v64, 0x1000, v11
	v_bfe_u32 v59, v33, 20, 11
	v_med3_i32 v50, v66, 0, 13
	v_or_b32_e32 v66, 0x1000, v7
	v_lshl_or_b32 v75, v53, 12, v26
	v_add_nc_u32_e32 v51, 0xfffffc10, v51
	v_lshrrev_b32_e32 v58, 8, v33
	v_sub_nc_u32_e32 v70, 0x3f1, v59
	v_med3_i32 v54, v68, 0, 13
	v_or_b32_e32 v68, 0x1000, v13
	v_lshl_or_b32 v73, v51, 12, v15
	v_add_nc_u32_e32 v49, 0xfffffc10, v49
	v_and_or_b32 v32, 0xffe, v58, v32
	v_med3_i32 v58, v70, 0, 13
	v_or_b32_e32 v70, 0x1000, v18
	v_or_b32_e32 v72, 0x1000, v15
	v_lshl_or_b32 v71, v49, 12, v18
	v_add_nc_u32_e32 v47, 0xfffffc10, v47
	v_or_b32_e32 v74, 0x1000, v26
	v_lshrrev_b32_e32 v81, v38, v60
	v_or_b32_e32 v76, 0x1000, v30
	v_lshrrev_b32_e32 v82, v40, v62
	v_lshl_or_b32 v69, v47, 12, v13
	v_add_nc_u32_e32 v45, 0xfffffc10, v45
	v_lshlrev_b32_e32 v38, v38, v81
	v_or_b32_e32 v78, 0x1000, v20
	v_lshrrev_b32_e32 v83, v42, v64
	v_lshrrev_b32_e32 v84, v44, v66
	v_lshl_or_b32 v67, v45, 12, v7
	v_add_nc_u32_e32 v43, 0xfffffc10, v43
	v_lshrrev_b32_e32 v85, v46, v68
	v_lshlrev_b32_e32 v42, v42, v83
	v_lshrrev_b32_e32 v86, v48, v70
	v_lshrrev_b32_e32 v87, v50, v72
	v_lshl_or_b32 v65, v43, 12, v11
	v_add_nc_u32_e32 v41, 0xfffffc10, v41
	v_lshrrev_b32_e32 v88, v52, v74
	v_lshrrev_b32_e32 v89, v54, v76
	v_lshlrev_b32_e32 v50, v50, v87
	v_or_b32_e32 v80, 0x1000, v32
	v_lshl_or_b32 v63, v41, 12, v0
	v_cndmask_b32_e64 v0, 0, 1, vcc_lo
	v_cmp_ne_u32_e32 vcc_lo, 0, v11
	v_lshlrev_b32_e32 v52, v52, v88
	v_lshrrev_b32_e32 v90, v56, v78
	v_lshlrev_b32_e32 v54, v54, v89
	v_lshrrev_b32_e32 v91, v58, v80
	v_cndmask_b32_e64 v11, 0, 1, vcc_lo
	v_cmp_ne_u32_e32 vcc_lo, 0, v7
	v_lshlrev_b32_e32 v56, v56, v90
	v_lshl_or_b32 v0, v0, 9, 0x7c00
	v_lshlrev_b32_e32 v58, v58, v91
	v_lshl_or_b32 v11, v11, 9, 0x7c00
	v_cndmask_b32_e64 v7, 0, 1, vcc_lo
	v_cmp_ne_u32_e32 vcc_lo, 0, v13
	v_lshlrev_b32_e32 v40, v40, v82
	v_mul_f64 v[34:35], v[34:35], s[20:21]
	v_cvt_f64_f32_e32 v[36:37], v36
	v_lshl_or_b32 v7, v7, 9, 0x7c00
	v_cndmask_b32_e64 v13, 0, 1, vcc_lo
	v_cmp_ne_u32_e32 vcc_lo, 0, v18
	v_lshlrev_b32_e32 v46, v46, v85
	v_lshrrev_b32_e32 v1, 16, v1
	v_lshrrev_b32_e32 v12, 16, v12
	v_lshl_or_b32 v13, v13, 9, 0x7c00
	v_cndmask_b32_e64 v18, 0, 1, vcc_lo
	v_cmp_ne_u32_e32 vcc_lo, 0, v15
	v_lshlrev_b32_e32 v44, v44, v84
	v_lshrrev_b32_e32 v23, 16, v23
	v_lshrrev_b32_e32 v14, 16, v14
	v_lshl_or_b32 v18, v18, 9, 0x7c00
	v_cndmask_b32_e64 v15, 0, 1, vcc_lo
	v_cmp_ne_u32_e32 vcc_lo, 0, v26
	v_lshrrev_b32_e32 v16, 16, v16
	v_lshrrev_b32_e32 v8, 16, v8
	;; [unrolled: 1-line block ×3, first 2 shown]
	v_lshl_or_b32 v15, v15, 9, 0x7c00
	v_cndmask_b32_e64 v26, 0, 1, vcc_lo
	v_cmp_ne_u32_e32 vcc_lo, 0, v30
	v_lshlrev_b32_e32 v48, v48, v86
	v_cvt_f32_f16_e32 v17, v17
	v_lshrrev_b32_e32 v27, 16, v27
	v_lshl_or_b32 v26, v26, 9, 0x7c00
	v_cndmask_b32_e64 v30, 0, 1, vcc_lo
	v_cmp_ne_u32_e32 vcc_lo, 0, v20
	v_lshrrev_b32_e32 v31, 16, v31
	v_lshrrev_b32_e32 v21, 16, v21
	s_delay_alu instid0(VALU_DEP_4)
	v_lshl_or_b32 v30, v30, 9, 0x7c00
	v_cndmask_b32_e64 v20, 0, 1, vcc_lo
	v_cmp_ne_u32_e32 vcc_lo, v38, v60
	v_and_or_b32 v34, 0x1ff, v35, v34
	v_cndmask_b32_e64 v38, 0, 1, vcc_lo
	v_cmp_ne_u32_e32 vcc_lo, v40, v62
	v_lshl_or_b32 v20, v20, 9, 0x7c00
	s_delay_alu instid0(VALU_DEP_3) | instskip(SKIP_2) | instid1(VALU_DEP_2)
	v_or_b32_e32 v38, v81, v38
	v_cndmask_b32_e64 v40, 0, 1, vcc_lo
	v_cmp_ne_u32_e32 vcc_lo, v42, v64
	v_or_b32_e32 v40, v82, v40
	v_cndmask_b32_e64 v42, 0, 1, vcc_lo
	v_cmp_ne_u32_e32 vcc_lo, v44, v66
	s_delay_alu instid0(VALU_DEP_2) | instskip(SKIP_2) | instid1(VALU_DEP_2)
	v_or_b32_e32 v42, v83, v42
	v_cndmask_b32_e64 v44, 0, 1, vcc_lo
	v_cmp_ne_u32_e32 vcc_lo, v46, v68
	v_or_b32_e32 v44, v84, v44
	v_cndmask_b32_e64 v46, 0, 1, vcc_lo
	v_cmp_ne_u32_e32 vcc_lo, v48, v70
	s_delay_alu instid0(VALU_DEP_2) | instskip(SKIP_2) | instid1(VALU_DEP_2)
	;; [unrolled: 7-line block ×4, first 2 shown]
	v_or_b32_e32 v54, v89, v54
	v_cndmask_b32_e64 v56, 0, 1, vcc_lo
	v_cmp_ne_u32_e32 vcc_lo, v58, v80
	v_or_b32_e32 v56, v90, v56
	v_cndmask_b32_e64 v58, 0, 1, vcc_lo
	v_cmp_gt_i32_e32 vcc_lo, 1, v39
	s_delay_alu instid0(VALU_DEP_2) | instskip(SKIP_2) | instid1(VALU_DEP_2)
	v_or_b32_e32 v58, v91, v58
	v_cndmask_b32_e32 v38, v61, v38, vcc_lo
	v_cmp_gt_i32_e32 vcc_lo, 1, v41
	v_and_b32_e32 v60, 7, v38
	v_cndmask_b32_e32 v40, v63, v40, vcc_lo
	v_cmp_gt_i32_e32 vcc_lo, 1, v43
	v_lshrrev_b32_e32 v38, 2, v38
	s_delay_alu instid0(VALU_DEP_4) | instskip(SKIP_2) | instid1(VALU_DEP_2)
	v_cmp_eq_u32_e64 s0, 3, v60
	v_cndmask_b32_e32 v42, v65, v42, vcc_lo
	v_cmp_gt_i32_e32 vcc_lo, 1, v45
	v_and_b32_e32 v62, 7, v42
	v_cndmask_b32_e32 v44, v67, v44, vcc_lo
	v_cmp_gt_i32_e32 vcc_lo, 1, v47
	v_lshrrev_b32_e32 v42, 2, v42
	s_delay_alu instid0(VALU_DEP_4) | instskip(SKIP_3) | instid1(VALU_DEP_2)
	v_cmp_lt_i32_e64 s3, 5, v62
	v_cmp_eq_u32_e64 s4, 3, v62
	v_cndmask_b32_e32 v46, v69, v46, vcc_lo
	v_cmp_gt_i32_e32 vcc_lo, 1, v49
	v_and_b32_e32 v64, 7, v46
	v_cndmask_b32_e32 v48, v71, v48, vcc_lo
	v_cmp_gt_i32_e32 vcc_lo, 1, v51
	v_lshrrev_b32_e32 v46, 2, v46
	s_delay_alu instid0(VALU_DEP_4) | instskip(SKIP_3) | instid1(VALU_DEP_2)
	v_cmp_lt_i32_e64 s7, 5, v64
	;; [unrolled: 9-line block ×3, first 2 shown]
	v_cmp_eq_u32_e64 s12, 3, v66
	v_cndmask_b32_e32 v54, v77, v54, vcc_lo
	v_cmp_gt_i32_e32 vcc_lo, 1, v57
	v_and_b32_e32 v68, 7, v54
	v_cndmask_b32_e32 v56, v79, v56, vcc_lo
	v_cmp_lt_i32_e32 vcc_lo, 5, v60
	v_lshrrev_b32_e32 v54, 2, v54
	s_delay_alu instid0(VALU_DEP_4)
	v_cmp_lt_i32_e64 s15, 5, v68
	v_cmp_eq_u32_e64 s16, 3, v68
	s_or_b32 vcc_lo, s0, vcc_lo
	v_add_co_ci_u32_e32 v38, vcc_lo, 0, v38, vcc_lo
	v_and_b32_e32 v61, 7, v40
	v_lshrrev_b32_e32 v40, 2, v40
	s_delay_alu instid0(VALU_DEP_2) | instskip(SKIP_1) | instid1(VALU_DEP_1)
	v_cmp_lt_i32_e64 s1, 5, v61
	v_cmp_eq_u32_e64 s2, 3, v61
	s_or_b32 vcc_lo, s2, s1
	s_delay_alu instid0(VALU_DEP_3) | instskip(SKIP_4) | instid1(VALU_DEP_2)
	v_add_co_ci_u32_e32 v40, vcc_lo, 0, v40, vcc_lo
	s_or_b32 vcc_lo, s4, s3
	v_add_co_ci_u32_e32 v42, vcc_lo, 0, v42, vcc_lo
	v_and_b32_e32 v63, 7, v44
	v_lshrrev_b32_e32 v44, 2, v44
	v_cmp_lt_i32_e64 s5, 5, v63
	v_cmp_eq_u32_e64 s6, 3, v63
	s_delay_alu instid0(VALU_DEP_1) | instskip(NEXT) | instid1(VALU_DEP_3)
	s_or_b32 vcc_lo, s6, s5
	v_add_co_ci_u32_e32 v44, vcc_lo, 0, v44, vcc_lo
	s_or_b32 vcc_lo, s8, s7
	v_add_co_ci_u32_e32 v46, vcc_lo, 0, v46, vcc_lo
	v_and_b32_e32 v65, 7, v48
	v_lshrrev_b32_e32 v48, 2, v48
	s_delay_alu instid0(VALU_DEP_2) | instskip(SKIP_1) | instid1(VALU_DEP_1)
	v_cmp_lt_i32_e64 s9, 5, v65
	v_cmp_eq_u32_e64 s10, 3, v65
	s_or_b32 vcc_lo, s10, s9
	s_delay_alu instid0(VALU_DEP_3) | instskip(SKIP_4) | instid1(VALU_DEP_2)
	v_add_co_ci_u32_e32 v48, vcc_lo, 0, v48, vcc_lo
	s_or_b32 vcc_lo, s12, s11
	v_add_co_ci_u32_e32 v50, vcc_lo, 0, v50, vcc_lo
	v_and_b32_e32 v67, 7, v52
	v_lshrrev_b32_e32 v52, 2, v52
	v_cmp_lt_i32_e64 s13, 5, v67
	v_cmp_eq_u32_e64 s14, 3, v67
	s_delay_alu instid0(VALU_DEP_1) | instskip(NEXT) | instid1(VALU_DEP_3)
	s_or_b32 vcc_lo, s14, s13
	v_add_co_ci_u32_e32 v52, vcc_lo, 0, v52, vcc_lo
	s_or_b32 vcc_lo, s16, s15
	v_add_co_ci_u32_e32 v54, vcc_lo, 0, v54, vcc_lo
	v_and_b32_e32 v69, 7, v56
	v_lshrrev_b32_e32 v56, 2, v56
	s_delay_alu instid0(VALU_DEP_2) | instskip(SKIP_1) | instid1(VALU_DEP_1)
	v_cmp_lt_i32_e64 s17, 5, v69
	v_cmp_eq_u32_e64 s18, 3, v69
	s_or_b32 vcc_lo, s18, s17
	s_delay_alu instid0(VALU_DEP_3)
	v_add_co_ci_u32_e32 v56, vcc_lo, 0, v56, vcc_lo
	v_cmp_gt_i32_e32 vcc_lo, 31, v39
	v_cndmask_b32_e32 v38, 0x7c00, v38, vcc_lo
	v_cmp_gt_i32_e32 vcc_lo, 31, v41
	v_cndmask_b32_e32 v40, 0x7c00, v40, vcc_lo
	;; [unrolled: 2-line block ×10, first 2 shown]
	v_cmp_eq_u32_e32 vcc_lo, 0x40f, v39
	v_cndmask_b32_e32 v22, v38, v22, vcc_lo
	v_cmp_eq_u32_e32 vcc_lo, 0x40f, v41
	v_add_nc_u32_e32 v59, 0xfffffc10, v59
	s_delay_alu instid0(VALU_DEP_3) | instskip(SKIP_2) | instid1(VALU_DEP_2)
	v_and_or_b32 v22, 0x8000, v23, v22
	v_cndmask_b32_e32 v0, v40, v0, vcc_lo
	v_cmp_eq_u32_e32 vcc_lo, 0x40f, v43
	v_and_or_b32 v0, 0x8000, v1, v0
	v_cndmask_b32_e32 v11, v42, v11, vcc_lo
	v_cmp_eq_u32_e32 vcc_lo, 0x40f, v45
	s_delay_alu instid0(VALU_DEP_2)
	v_and_or_b32 v1, 0x8000, v12, v11
	v_cndmask_b32_e32 v7, v44, v7, vcc_lo
	v_cmp_eq_u32_e32 vcc_lo, 0x40f, v47
	v_and_b32_e32 v12, 0xffff, v22
	s_waitcnt vmcnt(2)
	v_lshrrev_b32_e32 v22, 16, v3
	v_and_b32_e32 v1, 0xffff, v1
	v_and_or_b32 v7, 0x8000, v8, v7
	v_cndmask_b32_e32 v13, v46, v13, vcc_lo
	v_cmp_eq_u32_e32 vcc_lo, 0x40f, v49
	v_lshl_or_b32 v0, v0, 16, v12
	s_delay_alu instid0(VALU_DEP_4) | instskip(NEXT) | instid1(VALU_DEP_4)
	v_lshl_or_b32 v1, v7, 16, v1
	v_and_or_b32 v11, 0x8000, v14, v13
	v_cndmask_b32_e32 v18, v48, v18, vcc_lo
	v_cmp_eq_u32_e32 vcc_lo, 0x40f, v51
	s_delay_alu instid0(VALU_DEP_3) | instskip(NEXT) | instid1(VALU_DEP_3)
	v_and_b32_e32 v11, 0xffff, v11
	v_and_or_b32 v8, 0x8000, v19, v18
	v_cndmask_b32_e32 v15, v50, v15, vcc_lo
	v_cmp_eq_u32_e32 vcc_lo, 0x40f, v53
	s_delay_alu instid0(VALU_DEP_3) | instskip(NEXT) | instid1(VALU_DEP_3)
	v_lshl_or_b32 v7, v8, 16, v11
	v_and_or_b32 v13, 0x8000, v16, v15
	v_cndmask_b32_e32 v26, v52, v26, vcc_lo
	v_cmp_eq_u32_e32 vcc_lo, 0x40f, v55
	s_clause 0x2
	global_store_b32 v[9:10], v0, off
	global_store_b32 v[24:25], v1, off
	;; [unrolled: 1-line block ×3, first 2 shown]
	v_lshrrev_b32_e32 v8, 8, v35
	v_and_b32_e32 v12, 0xffff, v13
	v_bfe_u32 v13, v35, 20, 11
	v_cndmask_b32_e32 v30, v54, v30, vcc_lo
	v_cmp_eq_u32_e32 vcc_lo, 0x40f, v57
	v_lshl_or_b32 v9, v59, 12, v32
	v_cvt_f64_f32_e32 v[0:1], v17
	v_and_or_b32 v14, 0x8000, v27, v26
	v_and_or_b32 v11, 0x8000, v31, v30
	v_dual_cndmask_b32 v20, v56, v20 :: v_dual_add_nc_u32 v23, 0xfffffc10, v13
	v_cmp_ne_u32_e32 vcc_lo, 0, v34
	s_delay_alu instid0(VALU_DEP_4) | instskip(NEXT) | instid1(VALU_DEP_4)
	v_lshl_or_b32 v18, v14, 16, v12
	v_and_b32_e32 v19, 0xffff, v11
	s_delay_alu instid0(VALU_DEP_4) | instskip(SKIP_2) | instid1(VALU_DEP_3)
	v_and_or_b32 v14, 0x8000, v21, v20
	v_cndmask_b32_e64 v7, 0, 1, vcc_lo
	v_cmp_gt_i32_e32 vcc_lo, 1, v59
	v_lshl_or_b32 v19, v14, 16, v19
	s_delay_alu instid0(VALU_DEP_3)
	v_and_or_b32 v17, 0xffe, v8, v7
	ds_load_2addr_b32 v[7:8], v2 offset0:120 offset1:192
	v_sub_nc_u32_e32 v2, 0x3f1, v13
	v_cndmask_b32_e32 v15, v9, v58, vcc_lo
	v_mul_f64 v[9:10], v[36:37], s[20:21]
	v_or_b32_e32 v16, 0x1000, v17
	v_add_co_u32 v11, vcc_lo, v28, s19
	v_med3_i32 v2, v2, 0, 13
	v_and_b32_e32 v20, 7, v15
	v_add_co_ci_u32_e32 v12, vcc_lo, s22, v29, vcc_lo
	v_lshrrev_b32_e32 v14, 2, v15
	s_delay_alu instid0(VALU_DEP_4) | instskip(NEXT) | instid1(VALU_DEP_4)
	v_lshrrev_b32_e32 v21, v2, v16
	v_cmp_lt_i32_e32 vcc_lo, 5, v20
	v_cmp_eq_u32_e64 s0, 3, v20
	v_lshl_or_b32 v15, v23, 12, v17
	s_delay_alu instid0(VALU_DEP_4) | instskip(NEXT) | instid1(VALU_DEP_3)
	v_lshlrev_b32_e32 v2, v2, v21
	s_or_b32 vcc_lo, s0, vcc_lo
	s_waitcnt lgkmcnt(0)
	v_lshrrev_b32_e32 v20, 16, v7
	v_add_co_ci_u32_e32 v14, vcc_lo, 0, v14, vcc_lo
	v_cmp_ne_u32_e64 s1, v2, v16
	v_cmp_ne_u32_e32 vcc_lo, 0, v32
	s_delay_alu instid0(VALU_DEP_4) | instskip(SKIP_1) | instid1(VALU_DEP_4)
	v_mul_f16_e32 v13, v20, v22
	v_mul_f64 v[0:1], v[0:1], s[20:21]
	v_cndmask_b32_e64 v2, 0, 1, s1
	v_cndmask_b32_e64 v16, 0, 1, vcc_lo
	v_cmp_gt_i32_e32 vcc_lo, 1, v23
	v_fmac_f16_e32 v13, v7, v3
	v_mul_f16_e32 v7, v7, v22
	v_or_b32_e32 v2, v21, v2
	v_lshl_or_b32 v24, v16, 9, 0x7c00
	s_delay_alu instid0(VALU_DEP_4) | instskip(NEXT) | instid1(VALU_DEP_4)
	v_cvt_f32_f16_e32 v13, v13
	v_fma_f16 v3, v3, v20, -v7
	s_delay_alu instid0(VALU_DEP_4) | instskip(SKIP_3) | instid1(VALU_DEP_4)
	v_cndmask_b32_e32 v2, v15, v2, vcc_lo
	v_cmp_gt_i32_e32 vcc_lo, 31, v59
	v_and_or_b32 v9, 0x1ff, v10, v9
	v_bfe_u32 v26, v10, 20, 11
	v_and_b32_e32 v25, 7, v2
	v_cndmask_b32_e32 v21, 0x7c00, v14, vcc_lo
	v_add_co_u32 v15, vcc_lo, v11, s19
	v_add_co_ci_u32_e32 v16, vcc_lo, s22, v12, vcc_lo
	v_cmp_eq_u32_e32 vcc_lo, 0x40f, v59
	v_cmp_ne_u32_e64 s0, 0, v9
	v_cvt_f64_f32_e32 v[13:14], v13
	v_add_nc_u32_e32 v7, 0xfffffc10, v26
	v_cvt_f32_f16_e32 v3, v3
	v_cndmask_b32_e32 v21, v21, v24, vcc_lo
	v_cmp_lt_i32_e32 vcc_lo, 5, v25
	v_cndmask_b32_e64 v9, 0, 1, s0
	v_cmp_eq_u32_e64 s0, 3, v25
	v_lshrrev_b32_e32 v25, 16, v33
	v_lshrrev_b32_e32 v24, 8, v10
	s_clause 0x1
	global_store_b32 v[11:12], v18, off
	global_store_b32 v[15:16], v19, off
	v_lshrrev_b32_e32 v10, 16, v10
	s_or_b32 vcc_lo, s0, vcc_lo
	v_and_or_b32 v21, 0x8000, v25, v21
	v_and_or_b32 v9, 0xffe, v24, v9
	v_sub_nc_u32_e32 v24, 0x3f1, v26
	v_and_or_b32 v0, 0x1ff, v1, v0
	v_lshrrev_b32_e32 v22, 8, v1
	v_and_b32_e32 v21, 0xffff, v21
	v_lshrrev_b32_e32 v2, 2, v2
	v_or_b32_e32 v27, 0x1000, v9
	v_med3_i32 v24, v24, 0, 13
	s_delay_alu instid0(VALU_DEP_3) | instskip(SKIP_1) | instid1(VALU_DEP_3)
	v_add_co_ci_u32_e32 v2, vcc_lo, 0, v2, vcc_lo
	v_cmp_ne_u32_e32 vcc_lo, 0, v17
	v_lshrrev_b32_e32 v25, v24, v27
	v_cndmask_b32_e64 v17, 0, 1, vcc_lo
	v_cmp_gt_i32_e32 vcc_lo, 31, v23
	s_delay_alu instid0(VALU_DEP_2) | instskip(SKIP_4) | instid1(VALU_DEP_4)
	v_lshl_or_b32 v17, v17, 9, 0x7c00
	v_cndmask_b32_e32 v2, 0x7c00, v2, vcc_lo
	v_cmp_eq_u32_e32 vcc_lo, 0x40f, v23
	v_mul_f64 v[13:14], v[13:14], s[20:21]
	v_lshrrev_b32_e32 v23, 16, v35
	v_cndmask_b32_e32 v17, v2, v17, vcc_lo
	v_cmp_ne_u32_e32 vcc_lo, 0, v0
	v_lshlrev_b32_e32 v2, v24, v25
	v_bfe_u32 v24, v1, 20, 11
	v_lshrrev_b32_e32 v1, 16, v1
	v_and_or_b32 v17, 0x8000, v23, v17
	v_cndmask_b32_e64 v0, 0, 1, vcc_lo
	v_cmp_ne_u32_e32 vcc_lo, v2, v27
	v_sub_nc_u32_e32 v20, 0x3f1, v24
	s_delay_alu instid0(VALU_DEP_4) | instskip(NEXT) | instid1(VALU_DEP_4)
	v_lshl_or_b32 v17, v17, 16, v21
	v_and_or_b32 v0, 0xffe, v22, v0
	v_cndmask_b32_e64 v2, 0, 1, vcc_lo
	s_delay_alu instid0(VALU_DEP_4)
	v_med3_i32 v20, v20, 0, 13
	v_cmp_gt_i32_e32 vcc_lo, 1, v7
	s_waitcnt vmcnt(1)
	v_lshrrev_b32_e32 v21, 16, v4
	v_or_b32_e32 v26, 0x1000, v0
	v_or_b32_e32 v22, v25, v2
	v_lshl_or_b32 v25, v7, 12, v9
	v_cvt_f64_f32_e32 v[2:3], v3
	s_delay_alu instid0(VALU_DEP_4) | instskip(NEXT) | instid1(VALU_DEP_3)
	v_lshrrev_b32_e32 v23, v20, v26
	v_cndmask_b32_e32 v22, v25, v22, vcc_lo
	v_add_co_u32 v11, vcc_lo, v15, s19
	s_delay_alu instid0(VALU_DEP_3) | instskip(SKIP_2) | instid1(VALU_DEP_3)
	v_lshlrev_b32_e32 v19, v20, v23
	v_add_co_ci_u32_e32 v12, vcc_lo, s22, v16, vcc_lo
	v_lshrrev_b32_e32 v20, 16, v8
	v_cmp_ne_u32_e64 s0, v19, v26
	v_add_nc_u32_e32 v19, 0xfffffc10, v24
	v_and_b32_e32 v18, 7, v22
	s_delay_alu instid0(VALU_DEP_4)
	v_mul_f16_e32 v16, v20, v21
	v_and_or_b32 v13, 0x1ff, v14, v13
	v_cndmask_b32_e64 v15, 0, 1, s0
	v_bfe_u32 v24, v14, 20, 11
	v_cmp_lt_i32_e32 vcc_lo, 5, v18
	v_cmp_eq_u32_e64 s0, 3, v18
	v_lshrrev_b32_e32 v18, 2, v22
	v_or_b32_e32 v15, v23, v15
	v_lshl_or_b32 v22, v19, 12, v0
	v_fmac_f16_e32 v16, v8, v4
	s_or_b32 vcc_lo, s0, vcc_lo
	v_lshrrev_b32_e32 v23, 8, v14
	v_add_co_ci_u32_e32 v18, vcc_lo, 0, v18, vcc_lo
	v_cmp_gt_i32_e32 vcc_lo, 1, v19
	v_cvt_f32_f16_e32 v16, v16
	v_lshrrev_b32_e32 v14, 16, v14
	v_cndmask_b32_e32 v22, v22, v15, vcc_lo
	v_cmp_ne_u32_e32 vcc_lo, 0, v13
	s_delay_alu instid0(VALU_DEP_4)
	v_cvt_f64_f32_e32 v[15:16], v16
	v_cmp_eq_u32_e64 s1, 0x40f, v7
	v_mul_f64 v[2:3], v[2:3], s[20:21]
	v_and_b32_e32 v25, 7, v22
	v_cndmask_b32_e64 v13, 0, 1, vcc_lo
	v_cmp_ne_u32_e32 vcc_lo, 0, v9
	v_lshrrev_b32_e32 v22, 2, v22
	s_delay_alu instid0(VALU_DEP_4) | instskip(NEXT) | instid1(VALU_DEP_4)
	v_cmp_eq_u32_e64 s0, 3, v25
	v_and_or_b32 v13, 0xffe, v23, v13
	v_cndmask_b32_e64 v9, 0, 1, vcc_lo
	v_cmp_gt_i32_e32 vcc_lo, 31, v7
	v_sub_nc_u32_e32 v23, 0x3f1, v24
	s_delay_alu instid0(VALU_DEP_4) | instskip(NEXT) | instid1(VALU_DEP_4)
	v_or_b32_e32 v26, 0x1000, v13
	v_lshl_or_b32 v9, v9, 9, 0x7c00
	v_cndmask_b32_e32 v18, 0x7c00, v18, vcc_lo
	v_cmp_lt_i32_e32 vcc_lo, 5, v25
	v_med3_i32 v23, v23, 0, 13
	s_delay_alu instid0(VALU_DEP_3) | instskip(SKIP_1) | instid1(VALU_DEP_2)
	v_cndmask_b32_e64 v7, v18, v9, s1
	s_or_b32 vcc_lo, s0, vcc_lo
	v_lshrrev_b32_e32 v9, v23, v26
	v_add_co_ci_u32_e32 v18, vcc_lo, 0, v22, vcc_lo
	v_cmp_ne_u32_e32 vcc_lo, 0, v0
	v_and_or_b32 v10, 0x8000, v10, v7
	s_delay_alu instid0(VALU_DEP_4) | instskip(SKIP_4) | instid1(VALU_DEP_3)
	v_lshlrev_b32_e32 v22, v23, v9
	v_add_nc_u32_e32 v23, 0xfffffc10, v24
	v_cndmask_b32_e64 v0, 0, 1, vcc_lo
	v_cmp_gt_i32_e32 vcc_lo, 31, v19
	v_and_b32_e32 v10, 0xffff, v10
	v_lshl_or_b32 v0, v0, 9, 0x7c00
	v_cndmask_b32_e32 v18, 0x7c00, v18, vcc_lo
	v_cmp_ne_u32_e32 vcc_lo, v22, v26
	v_and_or_b32 v2, 0x1ff, v3, v2
	v_cndmask_b32_e64 v22, 0, 1, vcc_lo
	v_cmp_eq_u32_e32 vcc_lo, 0x40f, v19
	v_lshl_or_b32 v19, v23, 12, v13
	s_delay_alu instid0(VALU_DEP_3)
	v_or_b32_e32 v9, v9, v22
	v_cndmask_b32_e32 v0, v18, v0, vcc_lo
	v_mul_f16_e32 v18, v8, v21
	v_mul_f64 v[7:8], v[15:16], s[20:21]
	v_cmp_gt_i32_e32 vcc_lo, 1, v23
	v_lshrrev_b32_e32 v15, 8, v3
	v_bfe_u32 v16, v3, 20, 11
	v_fma_f16 v4, v4, v20, -v18
	v_and_or_b32 v18, 0x8000, v1, v0
	v_cndmask_b32_e32 v9, v19, v9, vcc_lo
	v_cmp_ne_u32_e32 vcc_lo, 0, v2
	s_waitcnt vmcnt(0)
	v_lshrrev_b32_e32 v20, 16, v5
	v_cvt_f32_f16_e32 v4, v4
	v_lshl_or_b32 v18, v18, 16, v10
	v_and_b32_e32 v19, 7, v9
	v_cndmask_b32_e64 v2, 0, 1, vcc_lo
	v_lshrrev_b32_e32 v9, 2, v9
	v_cvt_f64_f32_e32 v[0:1], v4
	v_sub_nc_u32_e32 v4, 0x3f1, v16
	v_cmp_lt_i32_e32 vcc_lo, 5, v19
	v_and_or_b32 v2, 0xffe, v15, v2
	v_lshrrev_b32_e32 v15, 16, v6
	v_cmp_eq_u32_e64 s0, 3, v19
	v_med3_i32 v4, v4, 0, 13
	s_delay_alu instid0(VALU_DEP_4) | instskip(NEXT) | instid1(VALU_DEP_4)
	v_or_b32_e32 v21, 0x1000, v2
	v_mul_f16_e32 v22, v15, v20
	s_delay_alu instid0(VALU_DEP_4) | instskip(SKIP_1) | instid1(VALU_DEP_3)
	s_or_b32 vcc_lo, s0, vcc_lo
	v_add_co_ci_u32_e32 v9, vcc_lo, 0, v9, vcc_lo
	v_lshrrev_b32_e32 v19, v4, v21
	s_delay_alu instid0(VALU_DEP_3) | instskip(SKIP_2) | instid1(VALU_DEP_4)
	v_fmac_f16_e32 v22, v6, v5
	v_cmp_ne_u32_e32 vcc_lo, 0, v13
	v_mul_f16_e32 v6, v6, v20
	v_lshlrev_b32_e32 v4, v4, v19
	s_delay_alu instid0(VALU_DEP_4) | instskip(SKIP_4) | instid1(VALU_DEP_4)
	v_cvt_f32_f16_e32 v13, v22
	v_cndmask_b32_e64 v10, 0, 1, vcc_lo
	v_cmp_gt_i32_e32 vcc_lo, 31, v23
	v_fma_f16 v5, v5, v15, -v6
	v_and_or_b32 v7, 0x1ff, v8, v7
	v_lshl_or_b32 v24, v10, 9, 0x7c00
	v_cndmask_b32_e32 v22, 0x7c00, v9, vcc_lo
	v_cvt_f64_f32_e32 v[9:10], v13
	v_cmp_ne_u32_e32 vcc_lo, v4, v21
	v_add_nc_u32_e32 v13, 0xfffffc10, v16
	v_lshrrev_b32_e32 v16, 8, v8
	v_cvt_f32_f16_e32 v5, v5
	v_cndmask_b32_e64 v4, 0, 1, vcc_lo
	v_cmp_ne_u32_e32 vcc_lo, 0, v7
	v_lshl_or_b32 v6, v13, 12, v2
	v_mul_f64 v[0:1], v[0:1], s[20:21]
	s_delay_alu instid0(VALU_DEP_4) | instskip(SKIP_4) | instid1(VALU_DEP_4)
	v_or_b32_e32 v4, v19, v4
	v_cndmask_b32_e64 v7, 0, 1, vcc_lo
	v_bfe_u32 v19, v8, 20, 11
	v_cmp_gt_i32_e32 vcc_lo, 1, v13
	v_lshrrev_b32_e32 v8, 16, v8
	v_and_or_b32 v15, 0xffe, v16, v7
	s_delay_alu instid0(VALU_DEP_4)
	v_sub_nc_u32_e32 v7, 0x3f1, v19
	v_cndmask_b32_e32 v16, v6, v4, vcc_lo
	v_cmp_eq_u32_e32 vcc_lo, 0x40f, v23
	v_cvt_f64_f32_e32 v[4:5], v5
	v_or_b32_e32 v20, 0x1000, v15
	v_med3_i32 v21, v7, 0, 13
	v_and_b32_e32 v23, 7, v16
	v_cndmask_b32_e32 v22, v22, v24, vcc_lo
	v_add_co_u32 v6, vcc_lo, v11, s19
	s_delay_alu instid0(VALU_DEP_4)
	v_lshrrev_b32_e32 v24, v21, v20
	v_add_co_ci_u32_e32 v7, vcc_lo, s22, v12, vcc_lo
	v_cmp_lt_i32_e32 vcc_lo, 5, v23
	v_cmp_eq_u32_e64 s0, 3, v23
	v_lshrrev_b32_e32 v16, 2, v16
	v_lshlrev_b32_e32 v21, v21, v24
	v_add_nc_u32_e32 v19, 0xfffffc10, v19
	v_and_or_b32 v14, 0x8000, v14, v22
	s_or_b32 vcc_lo, s0, vcc_lo
	v_mul_f64 v[9:10], v[9:10], s[20:21]
	v_add_co_ci_u32_e32 v16, vcc_lo, 0, v16, vcc_lo
	v_cmp_ne_u32_e64 s1, v21, v20
	v_cmp_ne_u32_e32 vcc_lo, 0, v2
	v_lshl_or_b32 v21, v19, 12, v15
	s_delay_alu instid0(VALU_DEP_3)
	v_cndmask_b32_e64 v20, 0, 1, s1
	v_cndmask_b32_e64 v2, 0, 1, vcc_lo
	v_cmp_gt_i32_e32 vcc_lo, 31, v13
	v_and_or_b32 v0, 0x1ff, v1, v0
	v_lshrrev_b32_e32 v22, 8, v1
	v_or_b32_e32 v20, v24, v20
	v_lshl_or_b32 v2, v2, 9, 0x7c00
	v_cndmask_b32_e32 v16, 0x7c00, v16, vcc_lo
	v_cmp_gt_i32_e32 vcc_lo, 1, v19
	s_delay_alu instid0(VALU_DEP_4) | instskip(SKIP_1) | instid1(VALU_DEP_2)
	v_cndmask_b32_e32 v20, v21, v20, vcc_lo
	v_cmp_eq_u32_e32 vcc_lo, 0x40f, v13
	v_and_b32_e32 v21, 7, v20
	v_cndmask_b32_e32 v13, v16, v2, vcc_lo
	v_lshrrev_b32_e32 v16, 16, v3
	v_cmp_ne_u32_e32 vcc_lo, 0, v0
	v_mul_f64 v[2:3], v[4:5], s[20:21]
	v_bfe_u32 v4, v1, 20, 11
	v_cmp_eq_u32_e64 s0, 3, v21
	v_and_or_b32 v5, 0x8000, v16, v13
	v_and_b32_e32 v13, 0xffff, v14
	v_cndmask_b32_e64 v0, 0, 1, vcc_lo
	v_cmp_lt_i32_e32 vcc_lo, 5, v21
	v_sub_nc_u32_e32 v14, 0x3f1, v4
	v_and_or_b32 v9, 0x1ff, v10, v9
	v_lshl_or_b32 v13, v5, 16, v13
	v_lshrrev_b32_e32 v5, 2, v20
	v_and_or_b32 v0, 0xffe, v22, v0
	s_or_b32 vcc_lo, s0, vcc_lo
	v_med3_i32 v14, v14, 0, 13
	v_lshrrev_b32_e32 v21, 8, v10
	v_add_co_ci_u32_e32 v5, vcc_lo, 0, v5, vcc_lo
	v_or_b32_e32 v16, 0x1000, v0
	v_cmp_ne_u32_e32 vcc_lo, 0, v15
	v_bfe_u32 v22, v10, 20, 11
	v_add_nc_u32_e32 v4, 0xfffffc10, v4
	v_lshrrev_b32_e32 v1, 16, v1
	v_lshrrev_b32_e32 v20, v14, v16
	v_cndmask_b32_e64 v15, 0, 1, vcc_lo
	v_cmp_gt_i32_e32 vcc_lo, 31, v19
	s_delay_alu instid0(VALU_DEP_3) | instskip(NEXT) | instid1(VALU_DEP_3)
	v_lshlrev_b32_e32 v14, v14, v20
	v_lshl_or_b32 v15, v15, 9, 0x7c00
	v_cndmask_b32_e32 v5, 0x7c00, v5, vcc_lo
	v_cmp_ne_u32_e32 vcc_lo, 0, v9
	v_cndmask_b32_e64 v9, 0, 1, vcc_lo
	v_cmp_ne_u32_e32 vcc_lo, v14, v16
	v_sub_nc_u32_e32 v16, 0x3f1, v22
	v_and_or_b32 v2, 0x1ff, v3, v2
	s_delay_alu instid0(VALU_DEP_4)
	v_and_or_b32 v9, 0xffe, v21, v9
	v_cndmask_b32_e64 v14, 0, 1, vcc_lo
	v_cmp_eq_u32_e32 vcc_lo, 0x40f, v19
	v_med3_i32 v16, v16, 0, 13
	v_bfe_u32 v21, v3, 20, 11
	v_or_b32_e32 v19, 0x1000, v9
	v_or_b32_e32 v14, v20, v14
	v_cndmask_b32_e32 v5, v5, v15, vcc_lo
	v_lshl_or_b32 v15, v4, 12, v0
	v_cmp_gt_i32_e32 vcc_lo, 1, v4
	v_lshrrev_b32_e32 v20, 8, v3
	v_lshrrev_b32_e32 v3, 16, v3
	v_and_or_b32 v5, 0x8000, v8, v5
	v_sub_nc_u32_e32 v8, 0x3f1, v21
	v_cndmask_b32_e32 v14, v15, v14, vcc_lo
	v_lshrrev_b32_e32 v15, v16, v19
	v_cmp_ne_u32_e32 vcc_lo, 0, v2
	v_and_b32_e32 v5, 0xffff, v5
	v_med3_i32 v8, v8, 0, 13
	v_and_b32_e32 v23, 7, v14
	v_lshlrev_b32_e32 v16, v16, v15
	v_cndmask_b32_e64 v2, 0, 1, vcc_lo
	v_lshrrev_b32_e32 v14, 2, v14
	s_delay_alu instid0(VALU_DEP_4) | instskip(NEXT) | instid1(VALU_DEP_4)
	v_cmp_lt_i32_e32 vcc_lo, 5, v23
	v_cmp_ne_u32_e64 s0, v16, v19
	s_delay_alu instid0(VALU_DEP_4) | instskip(SKIP_1) | instid1(VALU_DEP_3)
	v_and_or_b32 v2, 0xffe, v20, v2
	v_add_nc_u32_e32 v20, 0xfffffc10, v22
	v_cndmask_b32_e64 v16, 0, 1, s0
	v_cmp_eq_u32_e64 s0, 3, v23
	s_delay_alu instid0(VALU_DEP_4) | instskip(NEXT) | instid1(VALU_DEP_4)
	v_or_b32_e32 v19, 0x1000, v2
	v_lshl_or_b32 v22, v20, 12, v9
	s_delay_alu instid0(VALU_DEP_4) | instskip(NEXT) | instid1(VALU_DEP_4)
	v_or_b32_e32 v15, v15, v16
	s_or_b32 vcc_lo, s0, vcc_lo
	s_delay_alu instid0(VALU_DEP_3) | instskip(SKIP_2) | instid1(VALU_DEP_3)
	v_lshrrev_b32_e32 v16, v8, v19
	v_add_co_ci_u32_e32 v14, vcc_lo, 0, v14, vcc_lo
	v_cmp_gt_i32_e32 vcc_lo, 1, v20
	v_dual_cndmask_b32 v15, v22, v15 :: v_dual_lshlrev_b32 v8, v8, v16
	v_cmp_ne_u32_e32 vcc_lo, 0, v0
	v_cndmask_b32_e64 v0, 0, 1, vcc_lo
	s_delay_alu instid0(VALU_DEP_3) | instskip(SKIP_2) | instid1(VALU_DEP_4)
	v_cmp_ne_u32_e32 vcc_lo, v8, v19
	v_add_nc_u32_e32 v19, 0xfffffc10, v21
	v_and_b32_e32 v21, 7, v15
	v_lshl_or_b32 v0, v0, 9, 0x7c00
	v_cndmask_b32_e64 v8, 0, 1, vcc_lo
	v_cmp_gt_i32_e32 vcc_lo, 31, v4
	v_cmp_gt_i32_e64 s1, 1, v19
	v_cmp_eq_u32_e64 s0, 3, v21
	s_delay_alu instid0(VALU_DEP_4) | instskip(SKIP_3) | instid1(VALU_DEP_3)
	v_or_b32_e32 v8, v16, v8
	v_lshl_or_b32 v16, v19, 12, v2
	v_cndmask_b32_e32 v14, 0x7c00, v14, vcc_lo
	v_cmp_lt_i32_e32 vcc_lo, 5, v21
	v_cndmask_b32_e64 v8, v16, v8, s1
	v_cmp_eq_u32_e64 s1, 0x40f, v4
	v_lshrrev_b32_e32 v4, 2, v15
	s_or_b32 vcc_lo, s0, vcc_lo
	s_delay_alu instid0(VALU_DEP_2) | instskip(NEXT) | instid1(VALU_DEP_2)
	v_cndmask_b32_e64 v0, v14, v0, s1
	v_add_co_ci_u32_e32 v4, vcc_lo, 0, v4, vcc_lo
	v_and_b32_e32 v14, 7, v8
	v_cmp_ne_u32_e32 vcc_lo, 0, v9
	v_lshrrev_b32_e32 v8, 2, v8
	v_cmp_gt_i32_e64 s1, 31, v20
	s_delay_alu instid0(VALU_DEP_4) | instskip(SKIP_2) | instid1(VALU_DEP_4)
	v_cmp_eq_u32_e64 s0, 3, v14
	v_cndmask_b32_e64 v9, 0, 1, vcc_lo
	v_cmp_lt_i32_e32 vcc_lo, 5, v14
	v_cndmask_b32_e64 v4, 0x7c00, v4, s1
	s_delay_alu instid0(VALU_DEP_3)
	v_lshl_or_b32 v9, v9, 9, 0x7c00
	s_or_b32 vcc_lo, s0, vcc_lo
	v_add_co_ci_u32_e32 v8, vcc_lo, 0, v8, vcc_lo
	v_cmp_ne_u32_e32 vcc_lo, 0, v2
	v_cndmask_b32_e64 v2, 0, 1, vcc_lo
	v_cmp_eq_u32_e32 vcc_lo, 0x40f, v20
	s_delay_alu instid0(VALU_DEP_2)
	v_lshl_or_b32 v2, v2, 9, 0x7c00
	v_cndmask_b32_e32 v4, v4, v9, vcc_lo
	v_cmp_gt_i32_e32 vcc_lo, 31, v19
	v_lshrrev_b32_e32 v9, 16, v10
	v_and_or_b32 v10, 0x8000, v1, v0
	v_cndmask_b32_e32 v8, 0x7c00, v8, vcc_lo
	v_cmp_eq_u32_e32 vcc_lo, 0x40f, v19
	s_delay_alu instid0(VALU_DEP_4) | instskip(NEXT) | instid1(VALU_DEP_3)
	v_and_or_b32 v4, 0x8000, v9, v4
	v_cndmask_b32_e32 v2, v8, v2, vcc_lo
	v_add_co_u32 v0, vcc_lo, v6, s19
	v_add_co_ci_u32_e32 v1, vcc_lo, s22, v7, vcc_lo
	v_lshl_or_b32 v8, v10, 16, v5
	s_delay_alu instid0(VALU_DEP_4) | instskip(SKIP_3) | instid1(VALU_DEP_3)
	v_and_or_b32 v5, 0x8000, v3, v2
	v_and_b32_e32 v4, 0xffff, v4
	v_add_co_u32 v2, vcc_lo, v0, s19
	v_add_co_ci_u32_e32 v3, vcc_lo, s22, v1, vcc_lo
	v_lshl_or_b32 v9, v5, 16, v4
	s_delay_alu instid0(VALU_DEP_3) | instskip(NEXT) | instid1(VALU_DEP_3)
	v_add_co_u32 v4, vcc_lo, v2, s19
	v_add_co_ci_u32_e32 v5, vcc_lo, s22, v3, vcc_lo
	global_store_b32 v[11:12], v17, off
	global_store_b32 v[6:7], v18, off
	;; [unrolled: 1-line block ×5, first 2 shown]
.LBB0_23:
	s_nop 0
	s_sendmsg sendmsg(MSG_DEALLOC_VGPRS)
	s_endpgm
	.section	.rodata,"a",@progbits
	.p2align	6, 0x0
	.amdhsa_kernel bluestein_single_fwd_len720_dim1_half_op_CI_CI
		.amdhsa_group_segment_fixed_size 5760
		.amdhsa_private_segment_fixed_size 0
		.amdhsa_kernarg_size 104
		.amdhsa_user_sgpr_count 15
		.amdhsa_user_sgpr_dispatch_ptr 0
		.amdhsa_user_sgpr_queue_ptr 0
		.amdhsa_user_sgpr_kernarg_segment_ptr 1
		.amdhsa_user_sgpr_dispatch_id 0
		.amdhsa_user_sgpr_private_segment_size 0
		.amdhsa_wavefront_size32 1
		.amdhsa_uses_dynamic_stack 0
		.amdhsa_enable_private_segment 0
		.amdhsa_system_sgpr_workgroup_id_x 1
		.amdhsa_system_sgpr_workgroup_id_y 0
		.amdhsa_system_sgpr_workgroup_id_z 0
		.amdhsa_system_sgpr_workgroup_info 0
		.amdhsa_system_vgpr_workitem_id 0
		.amdhsa_next_free_vgpr 115
		.amdhsa_next_free_sgpr 23
		.amdhsa_reserve_vcc 1
		.amdhsa_float_round_mode_32 0
		.amdhsa_float_round_mode_16_64 0
		.amdhsa_float_denorm_mode_32 3
		.amdhsa_float_denorm_mode_16_64 3
		.amdhsa_dx10_clamp 1
		.amdhsa_ieee_mode 1
		.amdhsa_fp16_overflow 0
		.amdhsa_workgroup_processor_mode 1
		.amdhsa_memory_ordered 1
		.amdhsa_forward_progress 0
		.amdhsa_shared_vgpr_count 0
		.amdhsa_exception_fp_ieee_invalid_op 0
		.amdhsa_exception_fp_denorm_src 0
		.amdhsa_exception_fp_ieee_div_zero 0
		.amdhsa_exception_fp_ieee_overflow 0
		.amdhsa_exception_fp_ieee_underflow 0
		.amdhsa_exception_fp_ieee_inexact 0
		.amdhsa_exception_int_div_zero 0
	.end_amdhsa_kernel
	.text
.Lfunc_end0:
	.size	bluestein_single_fwd_len720_dim1_half_op_CI_CI, .Lfunc_end0-bluestein_single_fwd_len720_dim1_half_op_CI_CI
                                        ; -- End function
	.section	.AMDGPU.csdata,"",@progbits
; Kernel info:
; codeLenInByte = 13892
; NumSgprs: 25
; NumVgprs: 115
; ScratchSize: 0
; MemoryBound: 0
; FloatMode: 240
; IeeeMode: 1
; LDSByteSize: 5760 bytes/workgroup (compile time only)
; SGPRBlocks: 3
; VGPRBlocks: 14
; NumSGPRsForWavesPerEU: 25
; NumVGPRsForWavesPerEU: 115
; Occupancy: 12
; WaveLimiterHint : 1
; COMPUTE_PGM_RSRC2:SCRATCH_EN: 0
; COMPUTE_PGM_RSRC2:USER_SGPR: 15
; COMPUTE_PGM_RSRC2:TRAP_HANDLER: 0
; COMPUTE_PGM_RSRC2:TGID_X_EN: 1
; COMPUTE_PGM_RSRC2:TGID_Y_EN: 0
; COMPUTE_PGM_RSRC2:TGID_Z_EN: 0
; COMPUTE_PGM_RSRC2:TIDIG_COMP_CNT: 0
	.text
	.p2alignl 7, 3214868480
	.fill 96, 4, 3214868480
	.type	__hip_cuid_7a28b1db890d661,@object ; @__hip_cuid_7a28b1db890d661
	.section	.bss,"aw",@nobits
	.globl	__hip_cuid_7a28b1db890d661
__hip_cuid_7a28b1db890d661:
	.byte	0                               ; 0x0
	.size	__hip_cuid_7a28b1db890d661, 1

	.ident	"AMD clang version 19.0.0git (https://github.com/RadeonOpenCompute/llvm-project roc-6.4.0 25133 c7fe45cf4b819c5991fe208aaa96edf142730f1d)"
	.section	".note.GNU-stack","",@progbits
	.addrsig
	.addrsig_sym __hip_cuid_7a28b1db890d661
	.amdgpu_metadata
---
amdhsa.kernels:
  - .args:
      - .actual_access:  read_only
        .address_space:  global
        .offset:         0
        .size:           8
        .value_kind:     global_buffer
      - .actual_access:  read_only
        .address_space:  global
        .offset:         8
        .size:           8
        .value_kind:     global_buffer
      - .actual_access:  read_only
        .address_space:  global
        .offset:         16
        .size:           8
        .value_kind:     global_buffer
      - .actual_access:  read_only
        .address_space:  global
        .offset:         24
        .size:           8
        .value_kind:     global_buffer
      - .actual_access:  read_only
        .address_space:  global
        .offset:         32
        .size:           8
        .value_kind:     global_buffer
      - .offset:         40
        .size:           8
        .value_kind:     by_value
      - .address_space:  global
        .offset:         48
        .size:           8
        .value_kind:     global_buffer
      - .address_space:  global
        .offset:         56
        .size:           8
        .value_kind:     global_buffer
      - .address_space:  global
        .offset:         64
        .size:           8
        .value_kind:     global_buffer
      - .address_space:  global
        .offset:         72
        .size:           8
        .value_kind:     global_buffer
      - .offset:         80
        .size:           4
        .value_kind:     by_value
      - .address_space:  global
        .offset:         88
        .size:           8
        .value_kind:     global_buffer
      - .address_space:  global
        .offset:         96
        .size:           8
        .value_kind:     global_buffer
    .group_segment_fixed_size: 5760
    .kernarg_segment_align: 8
    .kernarg_segment_size: 104
    .language:       OpenCL C
    .language_version:
      - 2
      - 0
    .max_flat_workgroup_size: 240
    .name:           bluestein_single_fwd_len720_dim1_half_op_CI_CI
    .private_segment_fixed_size: 0
    .sgpr_count:     25
    .sgpr_spill_count: 0
    .symbol:         bluestein_single_fwd_len720_dim1_half_op_CI_CI.kd
    .uniform_work_group_size: 1
    .uses_dynamic_stack: false
    .vgpr_count:     115
    .vgpr_spill_count: 0
    .wavefront_size: 32
    .workgroup_processor_mode: 1
amdhsa.target:   amdgcn-amd-amdhsa--gfx1100
amdhsa.version:
  - 1
  - 2
...

	.end_amdgpu_metadata
